;; amdgpu-corpus repo=ROCm/rocSPARSE kind=compiled arch=gfx906 opt=O3
	.amdgcn_target "amdgcn-amd-amdhsa--gfx906"
	.amdhsa_code_object_version 6
	.section	.text._ZN9rocsparseL19nnz_compress_kernelILi1024ELi512ELi2EfEEvi21rocsparse_index_base_PKT2_PKiPiS2_,"axG",@progbits,_ZN9rocsparseL19nnz_compress_kernelILi1024ELi512ELi2EfEEvi21rocsparse_index_base_PKT2_PKiPiS2_,comdat
	.globl	_ZN9rocsparseL19nnz_compress_kernelILi1024ELi512ELi2EfEEvi21rocsparse_index_base_PKT2_PKiPiS2_ ; -- Begin function _ZN9rocsparseL19nnz_compress_kernelILi1024ELi512ELi2EfEEvi21rocsparse_index_base_PKT2_PKiPiS2_
	.p2align	8
	.type	_ZN9rocsparseL19nnz_compress_kernelILi1024ELi512ELi2EfEEvi21rocsparse_index_base_PKT2_PKiPiS2_,@function
_ZN9rocsparseL19nnz_compress_kernelILi1024ELi512ELi2EfEEvi21rocsparse_index_base_PKT2_PKiPiS2_: ; @_ZN9rocsparseL19nnz_compress_kernelILi1024ELi512ELi2EfEEvi21rocsparse_index_base_PKT2_PKiPiS2_
; %bb.0:
	s_load_dwordx2 s[0:1], s[4:5], 0x0
	v_lshrrev_b32_e32 v1, 1, v0
	v_lshl_or_b32 v1, s6, 9, v1
	s_waitcnt lgkmcnt(0)
	v_cmp_gt_i32_e32 vcc, s0, v1
	s_and_saveexec_b64 s[2:3], vcc
	s_cbranch_execz .LBB0_6
; %bb.1:
	s_load_dwordx4 s[8:11], s[4:5], 0x10
	v_ashrrev_i32_e32 v2, 31, v1
	v_lshlrev_b64 v[1:2], 2, v[1:2]
	v_and_b32_e32 v0, 1, v0
	v_subrev_u32_e32 v5, s1, v0
	s_waitcnt lgkmcnt(0)
	v_mov_b32_e32 v4, s9
	v_add_co_u32_e32 v3, vcc, s8, v1
	v_addc_co_u32_e32 v4, vcc, v4, v2, vcc
	global_load_dwordx2 v[3:4], v[3:4], off
	v_mov_b32_e32 v6, 0
	s_waitcnt vmcnt(0)
	v_subrev_u32_e32 v0, s1, v4
	v_add_u32_e32 v3, v3, v5
	v_cmp_lt_i32_e32 vcc, v3, v0
	s_and_saveexec_b64 s[6:7], vcc
	s_cbranch_execz .LBB0_5
; %bb.2:
	s_load_dwordx2 s[0:1], s[4:5], 0x8
	s_load_dword s8, s[4:5], 0x20
	v_ashrrev_i32_e32 v4, 31, v3
	v_lshlrev_b64 v[4:5], 2, v[3:4]
	s_mov_b64 s[4:5], 0
	s_waitcnt lgkmcnt(0)
	v_mov_b32_e32 v6, s1
	v_add_co_u32_e32 v4, vcc, s0, v4
	v_addc_co_u32_e32 v5, vcc, v6, v5, vcc
	v_mov_b32_e32 v6, 0
	s_mov_b32 s9, 0x800000
.LBB0_3:                                ; =>This Inner Loop Header: Depth=1
	global_load_dword v7, v[4:5], off
	v_add_co_u32_e32 v4, vcc, 8, v4
	v_add_u32_e32 v3, 2, v3
	v_addc_co_u32_e32 v5, vcc, 0, v5, vcc
	v_cmp_ge_i32_e32 vcc, v3, v0
	s_waitcnt vmcnt(0)
	v_cmp_gt_f32_e64 s[0:1], 0, v7
	v_cndmask_b32_e64 v7, v7, -v7, s[0:1]
	v_cmp_lt_f32_e64 s[0:1], s8, v7
	v_cmp_lt_f32_e64 s[2:3], s9, v7
	s_and_b64 s[0:1], s[0:1], s[2:3]
	s_or_b64 s[4:5], vcc, s[4:5]
	v_addc_co_u32_e64 v6, vcc, 0, v6, s[0:1]
	s_andn2_b64 exec, exec, s[4:5]
	s_cbranch_execnz .LBB0_3
; %bb.4:
	s_or_b64 exec, exec, s[4:5]
.LBB0_5:
	s_or_b64 exec, exec, s[6:7]
	v_mbcnt_lo_u32_b32 v3, -1, 0
	v_mov_b32_dpp v0, v6 row_shr:1 row_mask:0xf bank_mask:0xf
	v_mbcnt_hi_u32_b32 v3, -1, v3
	v_add_u32_e32 v0, v0, v6
	v_lshl_or_b32 v3, v3, 2, 4
	ds_bpermute_b32 v3, v3, v0
	v_mov_b32_e32 v4, s11
	v_add_co_u32_e32 v0, vcc, s10, v1
	v_addc_co_u32_e32 v1, vcc, v4, v2, vcc
	s_waitcnt lgkmcnt(0)
	global_store_dword v[0:1], v3, off
.LBB0_6:
	s_endpgm
	.section	.rodata,"a",@progbits
	.p2align	6, 0x0
	.amdhsa_kernel _ZN9rocsparseL19nnz_compress_kernelILi1024ELi512ELi2EfEEvi21rocsparse_index_base_PKT2_PKiPiS2_
		.amdhsa_group_segment_fixed_size 0
		.amdhsa_private_segment_fixed_size 0
		.amdhsa_kernarg_size 36
		.amdhsa_user_sgpr_count 6
		.amdhsa_user_sgpr_private_segment_buffer 1
		.amdhsa_user_sgpr_dispatch_ptr 0
		.amdhsa_user_sgpr_queue_ptr 0
		.amdhsa_user_sgpr_kernarg_segment_ptr 1
		.amdhsa_user_sgpr_dispatch_id 0
		.amdhsa_user_sgpr_flat_scratch_init 0
		.amdhsa_user_sgpr_private_segment_size 0
		.amdhsa_uses_dynamic_stack 0
		.amdhsa_system_sgpr_private_segment_wavefront_offset 0
		.amdhsa_system_sgpr_workgroup_id_x 1
		.amdhsa_system_sgpr_workgroup_id_y 0
		.amdhsa_system_sgpr_workgroup_id_z 0
		.amdhsa_system_sgpr_workgroup_info 0
		.amdhsa_system_vgpr_workitem_id 0
		.amdhsa_next_free_vgpr 8
		.amdhsa_next_free_sgpr 12
		.amdhsa_reserve_vcc 1
		.amdhsa_reserve_flat_scratch 0
		.amdhsa_float_round_mode_32 0
		.amdhsa_float_round_mode_16_64 0
		.amdhsa_float_denorm_mode_32 3
		.amdhsa_float_denorm_mode_16_64 3
		.amdhsa_dx10_clamp 1
		.amdhsa_ieee_mode 1
		.amdhsa_fp16_overflow 0
		.amdhsa_exception_fp_ieee_invalid_op 0
		.amdhsa_exception_fp_denorm_src 0
		.amdhsa_exception_fp_ieee_div_zero 0
		.amdhsa_exception_fp_ieee_overflow 0
		.amdhsa_exception_fp_ieee_underflow 0
		.amdhsa_exception_fp_ieee_inexact 0
		.amdhsa_exception_int_div_zero 0
	.end_amdhsa_kernel
	.section	.text._ZN9rocsparseL19nnz_compress_kernelILi1024ELi512ELi2EfEEvi21rocsparse_index_base_PKT2_PKiPiS2_,"axG",@progbits,_ZN9rocsparseL19nnz_compress_kernelILi1024ELi512ELi2EfEEvi21rocsparse_index_base_PKT2_PKiPiS2_,comdat
.Lfunc_end0:
	.size	_ZN9rocsparseL19nnz_compress_kernelILi1024ELi512ELi2EfEEvi21rocsparse_index_base_PKT2_PKiPiS2_, .Lfunc_end0-_ZN9rocsparseL19nnz_compress_kernelILi1024ELi512ELi2EfEEvi21rocsparse_index_base_PKT2_PKiPiS2_
                                        ; -- End function
	.set _ZN9rocsparseL19nnz_compress_kernelILi1024ELi512ELi2EfEEvi21rocsparse_index_base_PKT2_PKiPiS2_.num_vgpr, 8
	.set _ZN9rocsparseL19nnz_compress_kernelILi1024ELi512ELi2EfEEvi21rocsparse_index_base_PKT2_PKiPiS2_.num_agpr, 0
	.set _ZN9rocsparseL19nnz_compress_kernelILi1024ELi512ELi2EfEEvi21rocsparse_index_base_PKT2_PKiPiS2_.numbered_sgpr, 12
	.set _ZN9rocsparseL19nnz_compress_kernelILi1024ELi512ELi2EfEEvi21rocsparse_index_base_PKT2_PKiPiS2_.num_named_barrier, 0
	.set _ZN9rocsparseL19nnz_compress_kernelILi1024ELi512ELi2EfEEvi21rocsparse_index_base_PKT2_PKiPiS2_.private_seg_size, 0
	.set _ZN9rocsparseL19nnz_compress_kernelILi1024ELi512ELi2EfEEvi21rocsparse_index_base_PKT2_PKiPiS2_.uses_vcc, 1
	.set _ZN9rocsparseL19nnz_compress_kernelILi1024ELi512ELi2EfEEvi21rocsparse_index_base_PKT2_PKiPiS2_.uses_flat_scratch, 0
	.set _ZN9rocsparseL19nnz_compress_kernelILi1024ELi512ELi2EfEEvi21rocsparse_index_base_PKT2_PKiPiS2_.has_dyn_sized_stack, 0
	.set _ZN9rocsparseL19nnz_compress_kernelILi1024ELi512ELi2EfEEvi21rocsparse_index_base_PKT2_PKiPiS2_.has_recursion, 0
	.set _ZN9rocsparseL19nnz_compress_kernelILi1024ELi512ELi2EfEEvi21rocsparse_index_base_PKT2_PKiPiS2_.has_indirect_call, 0
	.section	.AMDGPU.csdata,"",@progbits
; Kernel info:
; codeLenInByte = 340
; TotalNumSgprs: 16
; NumVgprs: 8
; ScratchSize: 0
; MemoryBound: 0
; FloatMode: 240
; IeeeMode: 1
; LDSByteSize: 0 bytes/workgroup (compile time only)
; SGPRBlocks: 1
; VGPRBlocks: 1
; NumSGPRsForWavesPerEU: 16
; NumVGPRsForWavesPerEU: 8
; Occupancy: 10
; WaveLimiterHint : 0
; COMPUTE_PGM_RSRC2:SCRATCH_EN: 0
; COMPUTE_PGM_RSRC2:USER_SGPR: 6
; COMPUTE_PGM_RSRC2:TRAP_HANDLER: 0
; COMPUTE_PGM_RSRC2:TGID_X_EN: 1
; COMPUTE_PGM_RSRC2:TGID_Y_EN: 0
; COMPUTE_PGM_RSRC2:TGID_Z_EN: 0
; COMPUTE_PGM_RSRC2:TIDIG_COMP_CNT: 0
	.section	.text._ZN9rocsparseL19nnz_compress_kernelILi1024ELi256ELi4EfEEvi21rocsparse_index_base_PKT2_PKiPiS2_,"axG",@progbits,_ZN9rocsparseL19nnz_compress_kernelILi1024ELi256ELi4EfEEvi21rocsparse_index_base_PKT2_PKiPiS2_,comdat
	.globl	_ZN9rocsparseL19nnz_compress_kernelILi1024ELi256ELi4EfEEvi21rocsparse_index_base_PKT2_PKiPiS2_ ; -- Begin function _ZN9rocsparseL19nnz_compress_kernelILi1024ELi256ELi4EfEEvi21rocsparse_index_base_PKT2_PKiPiS2_
	.p2align	8
	.type	_ZN9rocsparseL19nnz_compress_kernelILi1024ELi256ELi4EfEEvi21rocsparse_index_base_PKT2_PKiPiS2_,@function
_ZN9rocsparseL19nnz_compress_kernelILi1024ELi256ELi4EfEEvi21rocsparse_index_base_PKT2_PKiPiS2_: ; @_ZN9rocsparseL19nnz_compress_kernelILi1024ELi256ELi4EfEEvi21rocsparse_index_base_PKT2_PKiPiS2_
; %bb.0:
	s_load_dwordx2 s[0:1], s[4:5], 0x0
	v_lshrrev_b32_e32 v1, 2, v0
	v_lshl_or_b32 v1, s6, 8, v1
	s_waitcnt lgkmcnt(0)
	v_cmp_gt_i32_e32 vcc, s0, v1
	s_and_saveexec_b64 s[2:3], vcc
	s_cbranch_execz .LBB1_6
; %bb.1:
	s_load_dwordx4 s[8:11], s[4:5], 0x10
	v_ashrrev_i32_e32 v2, 31, v1
	v_lshlrev_b64 v[1:2], 2, v[1:2]
	v_and_b32_e32 v0, 3, v0
	v_subrev_u32_e32 v5, s1, v0
	s_waitcnt lgkmcnt(0)
	v_mov_b32_e32 v4, s9
	v_add_co_u32_e32 v3, vcc, s8, v1
	v_addc_co_u32_e32 v4, vcc, v4, v2, vcc
	global_load_dwordx2 v[3:4], v[3:4], off
	v_mov_b32_e32 v6, 0
	s_waitcnt vmcnt(0)
	v_subrev_u32_e32 v0, s1, v4
	v_add_u32_e32 v3, v3, v5
	v_cmp_lt_i32_e32 vcc, v3, v0
	s_and_saveexec_b64 s[6:7], vcc
	s_cbranch_execz .LBB1_5
; %bb.2:
	s_load_dwordx2 s[0:1], s[4:5], 0x8
	s_load_dword s8, s[4:5], 0x20
	v_ashrrev_i32_e32 v4, 31, v3
	v_lshlrev_b64 v[4:5], 2, v[3:4]
	s_mov_b64 s[4:5], 0
	s_waitcnt lgkmcnt(0)
	v_mov_b32_e32 v6, s1
	v_add_co_u32_e32 v4, vcc, s0, v4
	v_addc_co_u32_e32 v5, vcc, v6, v5, vcc
	v_mov_b32_e32 v6, 0
	s_mov_b32 s9, 0x800000
.LBB1_3:                                ; =>This Inner Loop Header: Depth=1
	global_load_dword v7, v[4:5], off
	v_add_co_u32_e32 v4, vcc, 16, v4
	v_add_u32_e32 v3, 4, v3
	v_addc_co_u32_e32 v5, vcc, 0, v5, vcc
	v_cmp_ge_i32_e32 vcc, v3, v0
	s_waitcnt vmcnt(0)
	v_cmp_gt_f32_e64 s[0:1], 0, v7
	v_cndmask_b32_e64 v7, v7, -v7, s[0:1]
	v_cmp_lt_f32_e64 s[0:1], s8, v7
	v_cmp_lt_f32_e64 s[2:3], s9, v7
	s_and_b64 s[0:1], s[0:1], s[2:3]
	s_or_b64 s[4:5], vcc, s[4:5]
	v_addc_co_u32_e64 v6, vcc, 0, v6, s[0:1]
	s_andn2_b64 exec, exec, s[4:5]
	s_cbranch_execnz .LBB1_3
; %bb.4:
	s_or_b64 exec, exec, s[4:5]
.LBB1_5:
	s_or_b64 exec, exec, s[6:7]
	v_mov_b32_dpp v0, v6 row_shr:1 row_mask:0xf bank_mask:0xf
	v_add_u32_e32 v0, v0, v6
	v_mov_b32_e32 v4, s11
	s_nop 0
	v_mov_b32_dpp v3, v0 row_shr:2 row_mask:0xf bank_mask:0xf
	v_add_u32_e32 v0, v0, v3
	v_mbcnt_lo_u32_b32 v3, -1, 0
	v_mbcnt_hi_u32_b32 v3, -1, v3
	v_lshl_or_b32 v3, v3, 2, 12
	ds_bpermute_b32 v3, v3, v0
	v_add_co_u32_e32 v0, vcc, s10, v1
	v_addc_co_u32_e32 v1, vcc, v4, v2, vcc
	s_waitcnt lgkmcnt(0)
	global_store_dword v[0:1], v3, off
.LBB1_6:
	s_endpgm
	.section	.rodata,"a",@progbits
	.p2align	6, 0x0
	.amdhsa_kernel _ZN9rocsparseL19nnz_compress_kernelILi1024ELi256ELi4EfEEvi21rocsparse_index_base_PKT2_PKiPiS2_
		.amdhsa_group_segment_fixed_size 0
		.amdhsa_private_segment_fixed_size 0
		.amdhsa_kernarg_size 36
		.amdhsa_user_sgpr_count 6
		.amdhsa_user_sgpr_private_segment_buffer 1
		.amdhsa_user_sgpr_dispatch_ptr 0
		.amdhsa_user_sgpr_queue_ptr 0
		.amdhsa_user_sgpr_kernarg_segment_ptr 1
		.amdhsa_user_sgpr_dispatch_id 0
		.amdhsa_user_sgpr_flat_scratch_init 0
		.amdhsa_user_sgpr_private_segment_size 0
		.amdhsa_uses_dynamic_stack 0
		.amdhsa_system_sgpr_private_segment_wavefront_offset 0
		.amdhsa_system_sgpr_workgroup_id_x 1
		.amdhsa_system_sgpr_workgroup_id_y 0
		.amdhsa_system_sgpr_workgroup_id_z 0
		.amdhsa_system_sgpr_workgroup_info 0
		.amdhsa_system_vgpr_workitem_id 0
		.amdhsa_next_free_vgpr 8
		.amdhsa_next_free_sgpr 12
		.amdhsa_reserve_vcc 1
		.amdhsa_reserve_flat_scratch 0
		.amdhsa_float_round_mode_32 0
		.amdhsa_float_round_mode_16_64 0
		.amdhsa_float_denorm_mode_32 3
		.amdhsa_float_denorm_mode_16_64 3
		.amdhsa_dx10_clamp 1
		.amdhsa_ieee_mode 1
		.amdhsa_fp16_overflow 0
		.amdhsa_exception_fp_ieee_invalid_op 0
		.amdhsa_exception_fp_denorm_src 0
		.amdhsa_exception_fp_ieee_div_zero 0
		.amdhsa_exception_fp_ieee_overflow 0
		.amdhsa_exception_fp_ieee_underflow 0
		.amdhsa_exception_fp_ieee_inexact 0
		.amdhsa_exception_int_div_zero 0
	.end_amdhsa_kernel
	.section	.text._ZN9rocsparseL19nnz_compress_kernelILi1024ELi256ELi4EfEEvi21rocsparse_index_base_PKT2_PKiPiS2_,"axG",@progbits,_ZN9rocsparseL19nnz_compress_kernelILi1024ELi256ELi4EfEEvi21rocsparse_index_base_PKT2_PKiPiS2_,comdat
.Lfunc_end1:
	.size	_ZN9rocsparseL19nnz_compress_kernelILi1024ELi256ELi4EfEEvi21rocsparse_index_base_PKT2_PKiPiS2_, .Lfunc_end1-_ZN9rocsparseL19nnz_compress_kernelILi1024ELi256ELi4EfEEvi21rocsparse_index_base_PKT2_PKiPiS2_
                                        ; -- End function
	.set _ZN9rocsparseL19nnz_compress_kernelILi1024ELi256ELi4EfEEvi21rocsparse_index_base_PKT2_PKiPiS2_.num_vgpr, 8
	.set _ZN9rocsparseL19nnz_compress_kernelILi1024ELi256ELi4EfEEvi21rocsparse_index_base_PKT2_PKiPiS2_.num_agpr, 0
	.set _ZN9rocsparseL19nnz_compress_kernelILi1024ELi256ELi4EfEEvi21rocsparse_index_base_PKT2_PKiPiS2_.numbered_sgpr, 12
	.set _ZN9rocsparseL19nnz_compress_kernelILi1024ELi256ELi4EfEEvi21rocsparse_index_base_PKT2_PKiPiS2_.num_named_barrier, 0
	.set _ZN9rocsparseL19nnz_compress_kernelILi1024ELi256ELi4EfEEvi21rocsparse_index_base_PKT2_PKiPiS2_.private_seg_size, 0
	.set _ZN9rocsparseL19nnz_compress_kernelILi1024ELi256ELi4EfEEvi21rocsparse_index_base_PKT2_PKiPiS2_.uses_vcc, 1
	.set _ZN9rocsparseL19nnz_compress_kernelILi1024ELi256ELi4EfEEvi21rocsparse_index_base_PKT2_PKiPiS2_.uses_flat_scratch, 0
	.set _ZN9rocsparseL19nnz_compress_kernelILi1024ELi256ELi4EfEEvi21rocsparse_index_base_PKT2_PKiPiS2_.has_dyn_sized_stack, 0
	.set _ZN9rocsparseL19nnz_compress_kernelILi1024ELi256ELi4EfEEvi21rocsparse_index_base_PKT2_PKiPiS2_.has_recursion, 0
	.set _ZN9rocsparseL19nnz_compress_kernelILi1024ELi256ELi4EfEEvi21rocsparse_index_base_PKT2_PKiPiS2_.has_indirect_call, 0
	.section	.AMDGPU.csdata,"",@progbits
; Kernel info:
; codeLenInByte = 356
; TotalNumSgprs: 16
; NumVgprs: 8
; ScratchSize: 0
; MemoryBound: 0
; FloatMode: 240
; IeeeMode: 1
; LDSByteSize: 0 bytes/workgroup (compile time only)
; SGPRBlocks: 1
; VGPRBlocks: 1
; NumSGPRsForWavesPerEU: 16
; NumVGPRsForWavesPerEU: 8
; Occupancy: 10
; WaveLimiterHint : 0
; COMPUTE_PGM_RSRC2:SCRATCH_EN: 0
; COMPUTE_PGM_RSRC2:USER_SGPR: 6
; COMPUTE_PGM_RSRC2:TRAP_HANDLER: 0
; COMPUTE_PGM_RSRC2:TGID_X_EN: 1
; COMPUTE_PGM_RSRC2:TGID_Y_EN: 0
; COMPUTE_PGM_RSRC2:TGID_Z_EN: 0
; COMPUTE_PGM_RSRC2:TIDIG_COMP_CNT: 0
	.section	.text._ZN9rocsparseL19nnz_compress_kernelILi1024ELi128ELi8EfEEvi21rocsparse_index_base_PKT2_PKiPiS2_,"axG",@progbits,_ZN9rocsparseL19nnz_compress_kernelILi1024ELi128ELi8EfEEvi21rocsparse_index_base_PKT2_PKiPiS2_,comdat
	.globl	_ZN9rocsparseL19nnz_compress_kernelILi1024ELi128ELi8EfEEvi21rocsparse_index_base_PKT2_PKiPiS2_ ; -- Begin function _ZN9rocsparseL19nnz_compress_kernelILi1024ELi128ELi8EfEEvi21rocsparse_index_base_PKT2_PKiPiS2_
	.p2align	8
	.type	_ZN9rocsparseL19nnz_compress_kernelILi1024ELi128ELi8EfEEvi21rocsparse_index_base_PKT2_PKiPiS2_,@function
_ZN9rocsparseL19nnz_compress_kernelILi1024ELi128ELi8EfEEvi21rocsparse_index_base_PKT2_PKiPiS2_: ; @_ZN9rocsparseL19nnz_compress_kernelILi1024ELi128ELi8EfEEvi21rocsparse_index_base_PKT2_PKiPiS2_
; %bb.0:
	s_load_dwordx2 s[0:1], s[4:5], 0x0
	v_lshrrev_b32_e32 v1, 3, v0
	v_lshl_or_b32 v1, s6, 7, v1
	s_waitcnt lgkmcnt(0)
	v_cmp_gt_i32_e32 vcc, s0, v1
	s_and_saveexec_b64 s[2:3], vcc
	s_cbranch_execz .LBB2_6
; %bb.1:
	s_load_dwordx4 s[8:11], s[4:5], 0x10
	v_ashrrev_i32_e32 v2, 31, v1
	v_lshlrev_b64 v[1:2], 2, v[1:2]
	v_and_b32_e32 v0, 7, v0
	v_subrev_u32_e32 v5, s1, v0
	s_waitcnt lgkmcnt(0)
	v_mov_b32_e32 v4, s9
	v_add_co_u32_e32 v3, vcc, s8, v1
	v_addc_co_u32_e32 v4, vcc, v4, v2, vcc
	global_load_dwordx2 v[3:4], v[3:4], off
	v_mov_b32_e32 v6, 0
	s_waitcnt vmcnt(0)
	v_subrev_u32_e32 v0, s1, v4
	v_add_u32_e32 v3, v3, v5
	v_cmp_lt_i32_e32 vcc, v3, v0
	s_and_saveexec_b64 s[6:7], vcc
	s_cbranch_execz .LBB2_5
; %bb.2:
	s_load_dwordx2 s[0:1], s[4:5], 0x8
	s_load_dword s8, s[4:5], 0x20
	v_ashrrev_i32_e32 v4, 31, v3
	v_lshlrev_b64 v[4:5], 2, v[3:4]
	s_mov_b64 s[4:5], 0
	s_waitcnt lgkmcnt(0)
	v_mov_b32_e32 v6, s1
	v_add_co_u32_e32 v4, vcc, s0, v4
	v_addc_co_u32_e32 v5, vcc, v6, v5, vcc
	v_mov_b32_e32 v6, 0
	s_mov_b32 s9, 0x800000
.LBB2_3:                                ; =>This Inner Loop Header: Depth=1
	global_load_dword v7, v[4:5], off
	v_add_co_u32_e32 v4, vcc, 32, v4
	v_add_u32_e32 v3, 8, v3
	v_addc_co_u32_e32 v5, vcc, 0, v5, vcc
	v_cmp_ge_i32_e32 vcc, v3, v0
	s_waitcnt vmcnt(0)
	v_cmp_gt_f32_e64 s[0:1], 0, v7
	v_cndmask_b32_e64 v7, v7, -v7, s[0:1]
	v_cmp_lt_f32_e64 s[0:1], s8, v7
	v_cmp_lt_f32_e64 s[2:3], s9, v7
	s_and_b64 s[0:1], s[0:1], s[2:3]
	s_or_b64 s[4:5], vcc, s[4:5]
	v_addc_co_u32_e64 v6, vcc, 0, v6, s[0:1]
	s_andn2_b64 exec, exec, s[4:5]
	s_cbranch_execnz .LBB2_3
; %bb.4:
	s_or_b64 exec, exec, s[4:5]
.LBB2_5:
	s_or_b64 exec, exec, s[6:7]
	v_mov_b32_dpp v0, v6 row_shr:1 row_mask:0xf bank_mask:0xf
	v_add_u32_e32 v0, v0, v6
	v_mov_b32_e32 v4, s11
	s_nop 0
	v_mov_b32_dpp v3, v0 row_shr:2 row_mask:0xf bank_mask:0xf
	v_add_u32_e32 v0, v0, v3
	s_nop 1
	v_mov_b32_dpp v3, v0 row_shr:4 row_mask:0xf bank_mask:0xe
	v_add_u32_e32 v0, v0, v3
	v_mbcnt_lo_u32_b32 v3, -1, 0
	v_mbcnt_hi_u32_b32 v3, -1, v3
	v_lshl_or_b32 v3, v3, 2, 28
	ds_bpermute_b32 v3, v3, v0
	v_add_co_u32_e32 v0, vcc, s10, v1
	v_addc_co_u32_e32 v1, vcc, v4, v2, vcc
	s_waitcnt lgkmcnt(0)
	global_store_dword v[0:1], v3, off
.LBB2_6:
	s_endpgm
	.section	.rodata,"a",@progbits
	.p2align	6, 0x0
	.amdhsa_kernel _ZN9rocsparseL19nnz_compress_kernelILi1024ELi128ELi8EfEEvi21rocsparse_index_base_PKT2_PKiPiS2_
		.amdhsa_group_segment_fixed_size 0
		.amdhsa_private_segment_fixed_size 0
		.amdhsa_kernarg_size 36
		.amdhsa_user_sgpr_count 6
		.amdhsa_user_sgpr_private_segment_buffer 1
		.amdhsa_user_sgpr_dispatch_ptr 0
		.amdhsa_user_sgpr_queue_ptr 0
		.amdhsa_user_sgpr_kernarg_segment_ptr 1
		.amdhsa_user_sgpr_dispatch_id 0
		.amdhsa_user_sgpr_flat_scratch_init 0
		.amdhsa_user_sgpr_private_segment_size 0
		.amdhsa_uses_dynamic_stack 0
		.amdhsa_system_sgpr_private_segment_wavefront_offset 0
		.amdhsa_system_sgpr_workgroup_id_x 1
		.amdhsa_system_sgpr_workgroup_id_y 0
		.amdhsa_system_sgpr_workgroup_id_z 0
		.amdhsa_system_sgpr_workgroup_info 0
		.amdhsa_system_vgpr_workitem_id 0
		.amdhsa_next_free_vgpr 8
		.amdhsa_next_free_sgpr 12
		.amdhsa_reserve_vcc 1
		.amdhsa_reserve_flat_scratch 0
		.amdhsa_float_round_mode_32 0
		.amdhsa_float_round_mode_16_64 0
		.amdhsa_float_denorm_mode_32 3
		.amdhsa_float_denorm_mode_16_64 3
		.amdhsa_dx10_clamp 1
		.amdhsa_ieee_mode 1
		.amdhsa_fp16_overflow 0
		.amdhsa_exception_fp_ieee_invalid_op 0
		.amdhsa_exception_fp_denorm_src 0
		.amdhsa_exception_fp_ieee_div_zero 0
		.amdhsa_exception_fp_ieee_overflow 0
		.amdhsa_exception_fp_ieee_underflow 0
		.amdhsa_exception_fp_ieee_inexact 0
		.amdhsa_exception_int_div_zero 0
	.end_amdhsa_kernel
	.section	.text._ZN9rocsparseL19nnz_compress_kernelILi1024ELi128ELi8EfEEvi21rocsparse_index_base_PKT2_PKiPiS2_,"axG",@progbits,_ZN9rocsparseL19nnz_compress_kernelILi1024ELi128ELi8EfEEvi21rocsparse_index_base_PKT2_PKiPiS2_,comdat
.Lfunc_end2:
	.size	_ZN9rocsparseL19nnz_compress_kernelILi1024ELi128ELi8EfEEvi21rocsparse_index_base_PKT2_PKiPiS2_, .Lfunc_end2-_ZN9rocsparseL19nnz_compress_kernelILi1024ELi128ELi8EfEEvi21rocsparse_index_base_PKT2_PKiPiS2_
                                        ; -- End function
	.set _ZN9rocsparseL19nnz_compress_kernelILi1024ELi128ELi8EfEEvi21rocsparse_index_base_PKT2_PKiPiS2_.num_vgpr, 8
	.set _ZN9rocsparseL19nnz_compress_kernelILi1024ELi128ELi8EfEEvi21rocsparse_index_base_PKT2_PKiPiS2_.num_agpr, 0
	.set _ZN9rocsparseL19nnz_compress_kernelILi1024ELi128ELi8EfEEvi21rocsparse_index_base_PKT2_PKiPiS2_.numbered_sgpr, 12
	.set _ZN9rocsparseL19nnz_compress_kernelILi1024ELi128ELi8EfEEvi21rocsparse_index_base_PKT2_PKiPiS2_.num_named_barrier, 0
	.set _ZN9rocsparseL19nnz_compress_kernelILi1024ELi128ELi8EfEEvi21rocsparse_index_base_PKT2_PKiPiS2_.private_seg_size, 0
	.set _ZN9rocsparseL19nnz_compress_kernelILi1024ELi128ELi8EfEEvi21rocsparse_index_base_PKT2_PKiPiS2_.uses_vcc, 1
	.set _ZN9rocsparseL19nnz_compress_kernelILi1024ELi128ELi8EfEEvi21rocsparse_index_base_PKT2_PKiPiS2_.uses_flat_scratch, 0
	.set _ZN9rocsparseL19nnz_compress_kernelILi1024ELi128ELi8EfEEvi21rocsparse_index_base_PKT2_PKiPiS2_.has_dyn_sized_stack, 0
	.set _ZN9rocsparseL19nnz_compress_kernelILi1024ELi128ELi8EfEEvi21rocsparse_index_base_PKT2_PKiPiS2_.has_recursion, 0
	.set _ZN9rocsparseL19nnz_compress_kernelILi1024ELi128ELi8EfEEvi21rocsparse_index_base_PKT2_PKiPiS2_.has_indirect_call, 0
	.section	.AMDGPU.csdata,"",@progbits
; Kernel info:
; codeLenInByte = 372
; TotalNumSgprs: 16
; NumVgprs: 8
; ScratchSize: 0
; MemoryBound: 0
; FloatMode: 240
; IeeeMode: 1
; LDSByteSize: 0 bytes/workgroup (compile time only)
; SGPRBlocks: 1
; VGPRBlocks: 1
; NumSGPRsForWavesPerEU: 16
; NumVGPRsForWavesPerEU: 8
; Occupancy: 10
; WaveLimiterHint : 0
; COMPUTE_PGM_RSRC2:SCRATCH_EN: 0
; COMPUTE_PGM_RSRC2:USER_SGPR: 6
; COMPUTE_PGM_RSRC2:TRAP_HANDLER: 0
; COMPUTE_PGM_RSRC2:TGID_X_EN: 1
; COMPUTE_PGM_RSRC2:TGID_Y_EN: 0
; COMPUTE_PGM_RSRC2:TGID_Z_EN: 0
; COMPUTE_PGM_RSRC2:TIDIG_COMP_CNT: 0
	.section	.text._ZN9rocsparseL19nnz_compress_kernelILi1024ELi64ELi16EfEEvi21rocsparse_index_base_PKT2_PKiPiS2_,"axG",@progbits,_ZN9rocsparseL19nnz_compress_kernelILi1024ELi64ELi16EfEEvi21rocsparse_index_base_PKT2_PKiPiS2_,comdat
	.globl	_ZN9rocsparseL19nnz_compress_kernelILi1024ELi64ELi16EfEEvi21rocsparse_index_base_PKT2_PKiPiS2_ ; -- Begin function _ZN9rocsparseL19nnz_compress_kernelILi1024ELi64ELi16EfEEvi21rocsparse_index_base_PKT2_PKiPiS2_
	.p2align	8
	.type	_ZN9rocsparseL19nnz_compress_kernelILi1024ELi64ELi16EfEEvi21rocsparse_index_base_PKT2_PKiPiS2_,@function
_ZN9rocsparseL19nnz_compress_kernelILi1024ELi64ELi16EfEEvi21rocsparse_index_base_PKT2_PKiPiS2_: ; @_ZN9rocsparseL19nnz_compress_kernelILi1024ELi64ELi16EfEEvi21rocsparse_index_base_PKT2_PKiPiS2_
; %bb.0:
	s_load_dwordx2 s[0:1], s[4:5], 0x0
	v_lshrrev_b32_e32 v1, 4, v0
	v_lshl_or_b32 v1, s6, 6, v1
	s_waitcnt lgkmcnt(0)
	v_cmp_gt_i32_e32 vcc, s0, v1
	s_and_saveexec_b64 s[2:3], vcc
	s_cbranch_execz .LBB3_6
; %bb.1:
	s_load_dwordx4 s[8:11], s[4:5], 0x10
	v_ashrrev_i32_e32 v2, 31, v1
	v_lshlrev_b64 v[1:2], 2, v[1:2]
	v_and_b32_e32 v0, 15, v0
	v_subrev_u32_e32 v5, s1, v0
	s_waitcnt lgkmcnt(0)
	v_mov_b32_e32 v4, s9
	v_add_co_u32_e32 v3, vcc, s8, v1
	v_addc_co_u32_e32 v4, vcc, v4, v2, vcc
	global_load_dwordx2 v[3:4], v[3:4], off
	v_mov_b32_e32 v6, 0
	s_waitcnt vmcnt(0)
	v_subrev_u32_e32 v0, s1, v4
	v_add_u32_e32 v3, v3, v5
	v_cmp_lt_i32_e32 vcc, v3, v0
	s_and_saveexec_b64 s[6:7], vcc
	s_cbranch_execz .LBB3_5
; %bb.2:
	s_load_dwordx2 s[0:1], s[4:5], 0x8
	s_load_dword s8, s[4:5], 0x20
	v_ashrrev_i32_e32 v4, 31, v3
	v_lshlrev_b64 v[4:5], 2, v[3:4]
	s_mov_b64 s[4:5], 0
	s_waitcnt lgkmcnt(0)
	v_mov_b32_e32 v6, s1
	v_add_co_u32_e32 v4, vcc, s0, v4
	v_addc_co_u32_e32 v5, vcc, v6, v5, vcc
	v_mov_b32_e32 v6, 0
	s_mov_b32 s9, 0x800000
.LBB3_3:                                ; =>This Inner Loop Header: Depth=1
	global_load_dword v7, v[4:5], off
	v_add_co_u32_e32 v4, vcc, 64, v4
	v_add_u32_e32 v3, 16, v3
	v_addc_co_u32_e32 v5, vcc, 0, v5, vcc
	v_cmp_ge_i32_e32 vcc, v3, v0
	s_waitcnt vmcnt(0)
	v_cmp_gt_f32_e64 s[0:1], 0, v7
	v_cndmask_b32_e64 v7, v7, -v7, s[0:1]
	v_cmp_lt_f32_e64 s[0:1], s8, v7
	v_cmp_lt_f32_e64 s[2:3], s9, v7
	s_and_b64 s[0:1], s[0:1], s[2:3]
	s_or_b64 s[4:5], vcc, s[4:5]
	v_addc_co_u32_e64 v6, vcc, 0, v6, s[0:1]
	s_andn2_b64 exec, exec, s[4:5]
	s_cbranch_execnz .LBB3_3
; %bb.4:
	s_or_b64 exec, exec, s[4:5]
.LBB3_5:
	s_or_b64 exec, exec, s[6:7]
	v_mov_b32_dpp v0, v6 row_shr:1 row_mask:0xf bank_mask:0xf
	v_add_u32_e32 v0, v0, v6
	v_mov_b32_e32 v4, s11
	s_nop 0
	v_mov_b32_dpp v3, v0 row_shr:2 row_mask:0xf bank_mask:0xf
	v_add_u32_e32 v0, v0, v3
	s_nop 1
	v_mov_b32_dpp v3, v0 row_shr:4 row_mask:0xf bank_mask:0xe
	v_add_u32_e32 v0, v0, v3
	;; [unrolled: 3-line block ×3, first 2 shown]
	v_mbcnt_lo_u32_b32 v3, -1, 0
	v_mbcnt_hi_u32_b32 v3, -1, v3
	v_lshl_or_b32 v3, v3, 2, 60
	ds_bpermute_b32 v3, v3, v0
	v_add_co_u32_e32 v0, vcc, s10, v1
	v_addc_co_u32_e32 v1, vcc, v4, v2, vcc
	s_waitcnt lgkmcnt(0)
	global_store_dword v[0:1], v3, off
.LBB3_6:
	s_endpgm
	.section	.rodata,"a",@progbits
	.p2align	6, 0x0
	.amdhsa_kernel _ZN9rocsparseL19nnz_compress_kernelILi1024ELi64ELi16EfEEvi21rocsparse_index_base_PKT2_PKiPiS2_
		.amdhsa_group_segment_fixed_size 0
		.amdhsa_private_segment_fixed_size 0
		.amdhsa_kernarg_size 36
		.amdhsa_user_sgpr_count 6
		.amdhsa_user_sgpr_private_segment_buffer 1
		.amdhsa_user_sgpr_dispatch_ptr 0
		.amdhsa_user_sgpr_queue_ptr 0
		.amdhsa_user_sgpr_kernarg_segment_ptr 1
		.amdhsa_user_sgpr_dispatch_id 0
		.amdhsa_user_sgpr_flat_scratch_init 0
		.amdhsa_user_sgpr_private_segment_size 0
		.amdhsa_uses_dynamic_stack 0
		.amdhsa_system_sgpr_private_segment_wavefront_offset 0
		.amdhsa_system_sgpr_workgroup_id_x 1
		.amdhsa_system_sgpr_workgroup_id_y 0
		.amdhsa_system_sgpr_workgroup_id_z 0
		.amdhsa_system_sgpr_workgroup_info 0
		.amdhsa_system_vgpr_workitem_id 0
		.amdhsa_next_free_vgpr 8
		.amdhsa_next_free_sgpr 12
		.amdhsa_reserve_vcc 1
		.amdhsa_reserve_flat_scratch 0
		.amdhsa_float_round_mode_32 0
		.amdhsa_float_round_mode_16_64 0
		.amdhsa_float_denorm_mode_32 3
		.amdhsa_float_denorm_mode_16_64 3
		.amdhsa_dx10_clamp 1
		.amdhsa_ieee_mode 1
		.amdhsa_fp16_overflow 0
		.amdhsa_exception_fp_ieee_invalid_op 0
		.amdhsa_exception_fp_denorm_src 0
		.amdhsa_exception_fp_ieee_div_zero 0
		.amdhsa_exception_fp_ieee_overflow 0
		.amdhsa_exception_fp_ieee_underflow 0
		.amdhsa_exception_fp_ieee_inexact 0
		.amdhsa_exception_int_div_zero 0
	.end_amdhsa_kernel
	.section	.text._ZN9rocsparseL19nnz_compress_kernelILi1024ELi64ELi16EfEEvi21rocsparse_index_base_PKT2_PKiPiS2_,"axG",@progbits,_ZN9rocsparseL19nnz_compress_kernelILi1024ELi64ELi16EfEEvi21rocsparse_index_base_PKT2_PKiPiS2_,comdat
.Lfunc_end3:
	.size	_ZN9rocsparseL19nnz_compress_kernelILi1024ELi64ELi16EfEEvi21rocsparse_index_base_PKT2_PKiPiS2_, .Lfunc_end3-_ZN9rocsparseL19nnz_compress_kernelILi1024ELi64ELi16EfEEvi21rocsparse_index_base_PKT2_PKiPiS2_
                                        ; -- End function
	.set _ZN9rocsparseL19nnz_compress_kernelILi1024ELi64ELi16EfEEvi21rocsparse_index_base_PKT2_PKiPiS2_.num_vgpr, 8
	.set _ZN9rocsparseL19nnz_compress_kernelILi1024ELi64ELi16EfEEvi21rocsparse_index_base_PKT2_PKiPiS2_.num_agpr, 0
	.set _ZN9rocsparseL19nnz_compress_kernelILi1024ELi64ELi16EfEEvi21rocsparse_index_base_PKT2_PKiPiS2_.numbered_sgpr, 12
	.set _ZN9rocsparseL19nnz_compress_kernelILi1024ELi64ELi16EfEEvi21rocsparse_index_base_PKT2_PKiPiS2_.num_named_barrier, 0
	.set _ZN9rocsparseL19nnz_compress_kernelILi1024ELi64ELi16EfEEvi21rocsparse_index_base_PKT2_PKiPiS2_.private_seg_size, 0
	.set _ZN9rocsparseL19nnz_compress_kernelILi1024ELi64ELi16EfEEvi21rocsparse_index_base_PKT2_PKiPiS2_.uses_vcc, 1
	.set _ZN9rocsparseL19nnz_compress_kernelILi1024ELi64ELi16EfEEvi21rocsparse_index_base_PKT2_PKiPiS2_.uses_flat_scratch, 0
	.set _ZN9rocsparseL19nnz_compress_kernelILi1024ELi64ELi16EfEEvi21rocsparse_index_base_PKT2_PKiPiS2_.has_dyn_sized_stack, 0
	.set _ZN9rocsparseL19nnz_compress_kernelILi1024ELi64ELi16EfEEvi21rocsparse_index_base_PKT2_PKiPiS2_.has_recursion, 0
	.set _ZN9rocsparseL19nnz_compress_kernelILi1024ELi64ELi16EfEEvi21rocsparse_index_base_PKT2_PKiPiS2_.has_indirect_call, 0
	.section	.AMDGPU.csdata,"",@progbits
; Kernel info:
; codeLenInByte = 388
; TotalNumSgprs: 16
; NumVgprs: 8
; ScratchSize: 0
; MemoryBound: 0
; FloatMode: 240
; IeeeMode: 1
; LDSByteSize: 0 bytes/workgroup (compile time only)
; SGPRBlocks: 1
; VGPRBlocks: 1
; NumSGPRsForWavesPerEU: 16
; NumVGPRsForWavesPerEU: 8
; Occupancy: 10
; WaveLimiterHint : 0
; COMPUTE_PGM_RSRC2:SCRATCH_EN: 0
; COMPUTE_PGM_RSRC2:USER_SGPR: 6
; COMPUTE_PGM_RSRC2:TRAP_HANDLER: 0
; COMPUTE_PGM_RSRC2:TGID_X_EN: 1
; COMPUTE_PGM_RSRC2:TGID_Y_EN: 0
; COMPUTE_PGM_RSRC2:TGID_Z_EN: 0
; COMPUTE_PGM_RSRC2:TIDIG_COMP_CNT: 0
	.section	.text._ZN9rocsparseL19nnz_compress_kernelILi1024ELi32ELi32EfEEvi21rocsparse_index_base_PKT2_PKiPiS2_,"axG",@progbits,_ZN9rocsparseL19nnz_compress_kernelILi1024ELi32ELi32EfEEvi21rocsparse_index_base_PKT2_PKiPiS2_,comdat
	.globl	_ZN9rocsparseL19nnz_compress_kernelILi1024ELi32ELi32EfEEvi21rocsparse_index_base_PKT2_PKiPiS2_ ; -- Begin function _ZN9rocsparseL19nnz_compress_kernelILi1024ELi32ELi32EfEEvi21rocsparse_index_base_PKT2_PKiPiS2_
	.p2align	8
	.type	_ZN9rocsparseL19nnz_compress_kernelILi1024ELi32ELi32EfEEvi21rocsparse_index_base_PKT2_PKiPiS2_,@function
_ZN9rocsparseL19nnz_compress_kernelILi1024ELi32ELi32EfEEvi21rocsparse_index_base_PKT2_PKiPiS2_: ; @_ZN9rocsparseL19nnz_compress_kernelILi1024ELi32ELi32EfEEvi21rocsparse_index_base_PKT2_PKiPiS2_
; %bb.0:
	s_load_dwordx2 s[0:1], s[4:5], 0x0
	v_lshrrev_b32_e32 v1, 5, v0
	v_lshl_or_b32 v1, s6, 5, v1
	s_waitcnt lgkmcnt(0)
	v_cmp_gt_i32_e32 vcc, s0, v1
	s_and_saveexec_b64 s[2:3], vcc
	s_cbranch_execz .LBB4_6
; %bb.1:
	s_load_dwordx4 s[8:11], s[4:5], 0x10
	v_ashrrev_i32_e32 v2, 31, v1
	v_lshlrev_b64 v[1:2], 2, v[1:2]
	v_and_b32_e32 v0, 31, v0
	v_subrev_u32_e32 v5, s1, v0
	s_waitcnt lgkmcnt(0)
	v_mov_b32_e32 v4, s9
	v_add_co_u32_e32 v3, vcc, s8, v1
	v_addc_co_u32_e32 v4, vcc, v4, v2, vcc
	global_load_dwordx2 v[3:4], v[3:4], off
	v_mov_b32_e32 v6, 0
	s_waitcnt vmcnt(0)
	v_subrev_u32_e32 v0, s1, v4
	v_add_u32_e32 v3, v3, v5
	v_cmp_lt_i32_e32 vcc, v3, v0
	s_and_saveexec_b64 s[6:7], vcc
	s_cbranch_execz .LBB4_5
; %bb.2:
	s_load_dwordx2 s[0:1], s[4:5], 0x8
	s_load_dword s8, s[4:5], 0x20
	v_ashrrev_i32_e32 v4, 31, v3
	v_lshlrev_b64 v[4:5], 2, v[3:4]
	s_mov_b64 s[4:5], 0
	s_waitcnt lgkmcnt(0)
	v_mov_b32_e32 v6, s1
	v_add_co_u32_e32 v4, vcc, s0, v4
	v_addc_co_u32_e32 v5, vcc, v6, v5, vcc
	v_mov_b32_e32 v6, 0
	s_mov_b32 s9, 0x800000
.LBB4_3:                                ; =>This Inner Loop Header: Depth=1
	global_load_dword v7, v[4:5], off
	v_add_co_u32_e32 v4, vcc, 0x80, v4
	v_add_u32_e32 v3, 32, v3
	v_addc_co_u32_e32 v5, vcc, 0, v5, vcc
	v_cmp_ge_i32_e32 vcc, v3, v0
	s_waitcnt vmcnt(0)
	v_cmp_gt_f32_e64 s[0:1], 0, v7
	v_cndmask_b32_e64 v7, v7, -v7, s[0:1]
	v_cmp_lt_f32_e64 s[0:1], s8, v7
	v_cmp_lt_f32_e64 s[2:3], s9, v7
	s_and_b64 s[0:1], s[0:1], s[2:3]
	s_or_b64 s[4:5], vcc, s[4:5]
	v_addc_co_u32_e64 v6, vcc, 0, v6, s[0:1]
	s_andn2_b64 exec, exec, s[4:5]
	s_cbranch_execnz .LBB4_3
; %bb.4:
	s_or_b64 exec, exec, s[4:5]
.LBB4_5:
	s_or_b64 exec, exec, s[6:7]
	v_mov_b32_dpp v0, v6 row_shr:1 row_mask:0xf bank_mask:0xf
	v_add_u32_e32 v0, v0, v6
	v_mov_b32_e32 v4, 0x7c
	s_nop 0
	v_mov_b32_dpp v3, v0 row_shr:2 row_mask:0xf bank_mask:0xf
	v_add_u32_e32 v0, v0, v3
	s_nop 1
	v_mov_b32_dpp v3, v0 row_shr:4 row_mask:0xf bank_mask:0xe
	v_add_u32_e32 v0, v0, v3
	;; [unrolled: 3-line block ×3, first 2 shown]
	s_nop 1
	v_mov_b32_dpp v3, v0 row_bcast:15 row_mask:0xa bank_mask:0xf
	v_add_u32_e32 v0, v0, v3
	v_mbcnt_lo_u32_b32 v3, -1, 0
	v_mbcnt_hi_u32_b32 v3, -1, v3
	v_lshl_or_b32 v3, v3, 2, v4
	ds_bpermute_b32 v3, v3, v0
	v_mov_b32_e32 v4, s11
	v_add_co_u32_e32 v0, vcc, s10, v1
	v_addc_co_u32_e32 v1, vcc, v4, v2, vcc
	s_waitcnt lgkmcnt(0)
	global_store_dword v[0:1], v3, off
.LBB4_6:
	s_endpgm
	.section	.rodata,"a",@progbits
	.p2align	6, 0x0
	.amdhsa_kernel _ZN9rocsparseL19nnz_compress_kernelILi1024ELi32ELi32EfEEvi21rocsparse_index_base_PKT2_PKiPiS2_
		.amdhsa_group_segment_fixed_size 0
		.amdhsa_private_segment_fixed_size 0
		.amdhsa_kernarg_size 36
		.amdhsa_user_sgpr_count 6
		.amdhsa_user_sgpr_private_segment_buffer 1
		.amdhsa_user_sgpr_dispatch_ptr 0
		.amdhsa_user_sgpr_queue_ptr 0
		.amdhsa_user_sgpr_kernarg_segment_ptr 1
		.amdhsa_user_sgpr_dispatch_id 0
		.amdhsa_user_sgpr_flat_scratch_init 0
		.amdhsa_user_sgpr_private_segment_size 0
		.amdhsa_uses_dynamic_stack 0
		.amdhsa_system_sgpr_private_segment_wavefront_offset 0
		.amdhsa_system_sgpr_workgroup_id_x 1
		.amdhsa_system_sgpr_workgroup_id_y 0
		.amdhsa_system_sgpr_workgroup_id_z 0
		.amdhsa_system_sgpr_workgroup_info 0
		.amdhsa_system_vgpr_workitem_id 0
		.amdhsa_next_free_vgpr 8
		.amdhsa_next_free_sgpr 12
		.amdhsa_reserve_vcc 1
		.amdhsa_reserve_flat_scratch 0
		.amdhsa_float_round_mode_32 0
		.amdhsa_float_round_mode_16_64 0
		.amdhsa_float_denorm_mode_32 3
		.amdhsa_float_denorm_mode_16_64 3
		.amdhsa_dx10_clamp 1
		.amdhsa_ieee_mode 1
		.amdhsa_fp16_overflow 0
		.amdhsa_exception_fp_ieee_invalid_op 0
		.amdhsa_exception_fp_denorm_src 0
		.amdhsa_exception_fp_ieee_div_zero 0
		.amdhsa_exception_fp_ieee_overflow 0
		.amdhsa_exception_fp_ieee_underflow 0
		.amdhsa_exception_fp_ieee_inexact 0
		.amdhsa_exception_int_div_zero 0
	.end_amdhsa_kernel
	.section	.text._ZN9rocsparseL19nnz_compress_kernelILi1024ELi32ELi32EfEEvi21rocsparse_index_base_PKT2_PKiPiS2_,"axG",@progbits,_ZN9rocsparseL19nnz_compress_kernelILi1024ELi32ELi32EfEEvi21rocsparse_index_base_PKT2_PKiPiS2_,comdat
.Lfunc_end4:
	.size	_ZN9rocsparseL19nnz_compress_kernelILi1024ELi32ELi32EfEEvi21rocsparse_index_base_PKT2_PKiPiS2_, .Lfunc_end4-_ZN9rocsparseL19nnz_compress_kernelILi1024ELi32ELi32EfEEvi21rocsparse_index_base_PKT2_PKiPiS2_
                                        ; -- End function
	.set _ZN9rocsparseL19nnz_compress_kernelILi1024ELi32ELi32EfEEvi21rocsparse_index_base_PKT2_PKiPiS2_.num_vgpr, 8
	.set _ZN9rocsparseL19nnz_compress_kernelILi1024ELi32ELi32EfEEvi21rocsparse_index_base_PKT2_PKiPiS2_.num_agpr, 0
	.set _ZN9rocsparseL19nnz_compress_kernelILi1024ELi32ELi32EfEEvi21rocsparse_index_base_PKT2_PKiPiS2_.numbered_sgpr, 12
	.set _ZN9rocsparseL19nnz_compress_kernelILi1024ELi32ELi32EfEEvi21rocsparse_index_base_PKT2_PKiPiS2_.num_named_barrier, 0
	.set _ZN9rocsparseL19nnz_compress_kernelILi1024ELi32ELi32EfEEvi21rocsparse_index_base_PKT2_PKiPiS2_.private_seg_size, 0
	.set _ZN9rocsparseL19nnz_compress_kernelILi1024ELi32ELi32EfEEvi21rocsparse_index_base_PKT2_PKiPiS2_.uses_vcc, 1
	.set _ZN9rocsparseL19nnz_compress_kernelILi1024ELi32ELi32EfEEvi21rocsparse_index_base_PKT2_PKiPiS2_.uses_flat_scratch, 0
	.set _ZN9rocsparseL19nnz_compress_kernelILi1024ELi32ELi32EfEEvi21rocsparse_index_base_PKT2_PKiPiS2_.has_dyn_sized_stack, 0
	.set _ZN9rocsparseL19nnz_compress_kernelILi1024ELi32ELi32EfEEvi21rocsparse_index_base_PKT2_PKiPiS2_.has_recursion, 0
	.set _ZN9rocsparseL19nnz_compress_kernelILi1024ELi32ELi32EfEEvi21rocsparse_index_base_PKT2_PKiPiS2_.has_indirect_call, 0
	.section	.AMDGPU.csdata,"",@progbits
; Kernel info:
; codeLenInByte = 416
; TotalNumSgprs: 16
; NumVgprs: 8
; ScratchSize: 0
; MemoryBound: 0
; FloatMode: 240
; IeeeMode: 1
; LDSByteSize: 0 bytes/workgroup (compile time only)
; SGPRBlocks: 1
; VGPRBlocks: 1
; NumSGPRsForWavesPerEU: 16
; NumVGPRsForWavesPerEU: 8
; Occupancy: 10
; WaveLimiterHint : 0
; COMPUTE_PGM_RSRC2:SCRATCH_EN: 0
; COMPUTE_PGM_RSRC2:USER_SGPR: 6
; COMPUTE_PGM_RSRC2:TRAP_HANDLER: 0
; COMPUTE_PGM_RSRC2:TGID_X_EN: 1
; COMPUTE_PGM_RSRC2:TGID_Y_EN: 0
; COMPUTE_PGM_RSRC2:TGID_Z_EN: 0
; COMPUTE_PGM_RSRC2:TIDIG_COMP_CNT: 0
	.section	.text._ZN9rocsparseL19nnz_compress_kernelILi1024ELi16ELi64EfEEvi21rocsparse_index_base_PKT2_PKiPiS2_,"axG",@progbits,_ZN9rocsparseL19nnz_compress_kernelILi1024ELi16ELi64EfEEvi21rocsparse_index_base_PKT2_PKiPiS2_,comdat
	.globl	_ZN9rocsparseL19nnz_compress_kernelILi1024ELi16ELi64EfEEvi21rocsparse_index_base_PKT2_PKiPiS2_ ; -- Begin function _ZN9rocsparseL19nnz_compress_kernelILi1024ELi16ELi64EfEEvi21rocsparse_index_base_PKT2_PKiPiS2_
	.p2align	8
	.type	_ZN9rocsparseL19nnz_compress_kernelILi1024ELi16ELi64EfEEvi21rocsparse_index_base_PKT2_PKiPiS2_,@function
_ZN9rocsparseL19nnz_compress_kernelILi1024ELi16ELi64EfEEvi21rocsparse_index_base_PKT2_PKiPiS2_: ; @_ZN9rocsparseL19nnz_compress_kernelILi1024ELi16ELi64EfEEvi21rocsparse_index_base_PKT2_PKiPiS2_
; %bb.0:
	s_load_dwordx2 s[0:1], s[4:5], 0x0
	v_lshrrev_b32_e32 v1, 6, v0
	v_lshl_or_b32 v1, s6, 4, v1
	s_waitcnt lgkmcnt(0)
	v_cmp_gt_i32_e32 vcc, s0, v1
	s_and_saveexec_b64 s[2:3], vcc
	s_cbranch_execz .LBB5_6
; %bb.1:
	s_load_dwordx4 s[8:11], s[4:5], 0x10
	v_ashrrev_i32_e32 v2, 31, v1
	v_lshlrev_b64 v[1:2], 2, v[1:2]
	v_and_b32_e32 v0, 63, v0
	v_subrev_u32_e32 v5, s1, v0
	s_waitcnt lgkmcnt(0)
	v_mov_b32_e32 v4, s9
	v_add_co_u32_e32 v3, vcc, s8, v1
	v_addc_co_u32_e32 v4, vcc, v4, v2, vcc
	global_load_dwordx2 v[3:4], v[3:4], off
	v_mov_b32_e32 v6, 0
	s_waitcnt vmcnt(0)
	v_subrev_u32_e32 v0, s1, v4
	v_add_u32_e32 v3, v3, v5
	v_cmp_lt_i32_e32 vcc, v3, v0
	s_and_saveexec_b64 s[6:7], vcc
	s_cbranch_execz .LBB5_5
; %bb.2:
	s_load_dwordx2 s[0:1], s[4:5], 0x8
	s_load_dword s8, s[4:5], 0x20
	v_ashrrev_i32_e32 v4, 31, v3
	v_lshlrev_b64 v[4:5], 2, v[3:4]
	s_mov_b64 s[4:5], 0
	s_waitcnt lgkmcnt(0)
	v_mov_b32_e32 v6, s1
	v_add_co_u32_e32 v4, vcc, s0, v4
	v_addc_co_u32_e32 v5, vcc, v6, v5, vcc
	v_mov_b32_e32 v6, 0
	s_mov_b32 s9, 0x800000
.LBB5_3:                                ; =>This Inner Loop Header: Depth=1
	global_load_dword v7, v[4:5], off
	v_add_co_u32_e32 v4, vcc, 0x100, v4
	v_add_u32_e32 v3, 64, v3
	v_addc_co_u32_e32 v5, vcc, 0, v5, vcc
	v_cmp_ge_i32_e32 vcc, v3, v0
	s_waitcnt vmcnt(0)
	v_cmp_gt_f32_e64 s[0:1], 0, v7
	v_cndmask_b32_e64 v7, v7, -v7, s[0:1]
	v_cmp_lt_f32_e64 s[0:1], s8, v7
	v_cmp_lt_f32_e64 s[2:3], s9, v7
	s_and_b64 s[0:1], s[0:1], s[2:3]
	s_or_b64 s[4:5], vcc, s[4:5]
	v_addc_co_u32_e64 v6, vcc, 0, v6, s[0:1]
	s_andn2_b64 exec, exec, s[4:5]
	s_cbranch_execnz .LBB5_3
; %bb.4:
	s_or_b64 exec, exec, s[4:5]
.LBB5_5:
	s_or_b64 exec, exec, s[6:7]
	v_mov_b32_dpp v0, v6 row_shr:1 row_mask:0xf bank_mask:0xf
	v_add_u32_e32 v0, v0, v6
	v_bfrev_b32_e32 v4, 0.5
	s_nop 0
	v_mov_b32_dpp v3, v0 row_shr:2 row_mask:0xf bank_mask:0xf
	v_add_u32_e32 v0, v0, v3
	s_nop 1
	v_mov_b32_dpp v3, v0 row_shr:4 row_mask:0xf bank_mask:0xe
	v_add_u32_e32 v0, v0, v3
	;; [unrolled: 3-line block ×3, first 2 shown]
	s_nop 1
	v_mov_b32_dpp v3, v0 row_bcast:15 row_mask:0xa bank_mask:0xf
	v_add_u32_e32 v0, v0, v3
	s_nop 1
	v_mov_b32_dpp v3, v0 row_bcast:31 row_mask:0xc bank_mask:0xf
	v_add_u32_e32 v0, v0, v3
	v_mbcnt_lo_u32_b32 v3, -1, 0
	v_mbcnt_hi_u32_b32 v3, -1, v3
	v_lshl_or_b32 v3, v3, 2, v4
	ds_bpermute_b32 v3, v3, v0
	v_mov_b32_e32 v4, s11
	v_add_co_u32_e32 v0, vcc, s10, v1
	v_addc_co_u32_e32 v1, vcc, v4, v2, vcc
	s_waitcnt lgkmcnt(0)
	global_store_dword v[0:1], v3, off
.LBB5_6:
	s_endpgm
	.section	.rodata,"a",@progbits
	.p2align	6, 0x0
	.amdhsa_kernel _ZN9rocsparseL19nnz_compress_kernelILi1024ELi16ELi64EfEEvi21rocsparse_index_base_PKT2_PKiPiS2_
		.amdhsa_group_segment_fixed_size 0
		.amdhsa_private_segment_fixed_size 0
		.amdhsa_kernarg_size 36
		.amdhsa_user_sgpr_count 6
		.amdhsa_user_sgpr_private_segment_buffer 1
		.amdhsa_user_sgpr_dispatch_ptr 0
		.amdhsa_user_sgpr_queue_ptr 0
		.amdhsa_user_sgpr_kernarg_segment_ptr 1
		.amdhsa_user_sgpr_dispatch_id 0
		.amdhsa_user_sgpr_flat_scratch_init 0
		.amdhsa_user_sgpr_private_segment_size 0
		.amdhsa_uses_dynamic_stack 0
		.amdhsa_system_sgpr_private_segment_wavefront_offset 0
		.amdhsa_system_sgpr_workgroup_id_x 1
		.amdhsa_system_sgpr_workgroup_id_y 0
		.amdhsa_system_sgpr_workgroup_id_z 0
		.amdhsa_system_sgpr_workgroup_info 0
		.amdhsa_system_vgpr_workitem_id 0
		.amdhsa_next_free_vgpr 8
		.amdhsa_next_free_sgpr 12
		.amdhsa_reserve_vcc 1
		.amdhsa_reserve_flat_scratch 0
		.amdhsa_float_round_mode_32 0
		.amdhsa_float_round_mode_16_64 0
		.amdhsa_float_denorm_mode_32 3
		.amdhsa_float_denorm_mode_16_64 3
		.amdhsa_dx10_clamp 1
		.amdhsa_ieee_mode 1
		.amdhsa_fp16_overflow 0
		.amdhsa_exception_fp_ieee_invalid_op 0
		.amdhsa_exception_fp_denorm_src 0
		.amdhsa_exception_fp_ieee_div_zero 0
		.amdhsa_exception_fp_ieee_overflow 0
		.amdhsa_exception_fp_ieee_underflow 0
		.amdhsa_exception_fp_ieee_inexact 0
		.amdhsa_exception_int_div_zero 0
	.end_amdhsa_kernel
	.section	.text._ZN9rocsparseL19nnz_compress_kernelILi1024ELi16ELi64EfEEvi21rocsparse_index_base_PKT2_PKiPiS2_,"axG",@progbits,_ZN9rocsparseL19nnz_compress_kernelILi1024ELi16ELi64EfEEvi21rocsparse_index_base_PKT2_PKiPiS2_,comdat
.Lfunc_end5:
	.size	_ZN9rocsparseL19nnz_compress_kernelILi1024ELi16ELi64EfEEvi21rocsparse_index_base_PKT2_PKiPiS2_, .Lfunc_end5-_ZN9rocsparseL19nnz_compress_kernelILi1024ELi16ELi64EfEEvi21rocsparse_index_base_PKT2_PKiPiS2_
                                        ; -- End function
	.set _ZN9rocsparseL19nnz_compress_kernelILi1024ELi16ELi64EfEEvi21rocsparse_index_base_PKT2_PKiPiS2_.num_vgpr, 8
	.set _ZN9rocsparseL19nnz_compress_kernelILi1024ELi16ELi64EfEEvi21rocsparse_index_base_PKT2_PKiPiS2_.num_agpr, 0
	.set _ZN9rocsparseL19nnz_compress_kernelILi1024ELi16ELi64EfEEvi21rocsparse_index_base_PKT2_PKiPiS2_.numbered_sgpr, 12
	.set _ZN9rocsparseL19nnz_compress_kernelILi1024ELi16ELi64EfEEvi21rocsparse_index_base_PKT2_PKiPiS2_.num_named_barrier, 0
	.set _ZN9rocsparseL19nnz_compress_kernelILi1024ELi16ELi64EfEEvi21rocsparse_index_base_PKT2_PKiPiS2_.private_seg_size, 0
	.set _ZN9rocsparseL19nnz_compress_kernelILi1024ELi16ELi64EfEEvi21rocsparse_index_base_PKT2_PKiPiS2_.uses_vcc, 1
	.set _ZN9rocsparseL19nnz_compress_kernelILi1024ELi16ELi64EfEEvi21rocsparse_index_base_PKT2_PKiPiS2_.uses_flat_scratch, 0
	.set _ZN9rocsparseL19nnz_compress_kernelILi1024ELi16ELi64EfEEvi21rocsparse_index_base_PKT2_PKiPiS2_.has_dyn_sized_stack, 0
	.set _ZN9rocsparseL19nnz_compress_kernelILi1024ELi16ELi64EfEEvi21rocsparse_index_base_PKT2_PKiPiS2_.has_recursion, 0
	.set _ZN9rocsparseL19nnz_compress_kernelILi1024ELi16ELi64EfEEvi21rocsparse_index_base_PKT2_PKiPiS2_.has_indirect_call, 0
	.section	.AMDGPU.csdata,"",@progbits
; Kernel info:
; codeLenInByte = 428
; TotalNumSgprs: 16
; NumVgprs: 8
; ScratchSize: 0
; MemoryBound: 0
; FloatMode: 240
; IeeeMode: 1
; LDSByteSize: 0 bytes/workgroup (compile time only)
; SGPRBlocks: 1
; VGPRBlocks: 1
; NumSGPRsForWavesPerEU: 16
; NumVGPRsForWavesPerEU: 8
; Occupancy: 10
; WaveLimiterHint : 0
; COMPUTE_PGM_RSRC2:SCRATCH_EN: 0
; COMPUTE_PGM_RSRC2:USER_SGPR: 6
; COMPUTE_PGM_RSRC2:TRAP_HANDLER: 0
; COMPUTE_PGM_RSRC2:TGID_X_EN: 1
; COMPUTE_PGM_RSRC2:TGID_Y_EN: 0
; COMPUTE_PGM_RSRC2:TGID_Z_EN: 0
; COMPUTE_PGM_RSRC2:TIDIG_COMP_CNT: 0
	.section	.text._ZN9rocsparseL19nnz_compress_kernelILi1024ELi512ELi2EdEEvi21rocsparse_index_base_PKT2_PKiPiS2_,"axG",@progbits,_ZN9rocsparseL19nnz_compress_kernelILi1024ELi512ELi2EdEEvi21rocsparse_index_base_PKT2_PKiPiS2_,comdat
	.globl	_ZN9rocsparseL19nnz_compress_kernelILi1024ELi512ELi2EdEEvi21rocsparse_index_base_PKT2_PKiPiS2_ ; -- Begin function _ZN9rocsparseL19nnz_compress_kernelILi1024ELi512ELi2EdEEvi21rocsparse_index_base_PKT2_PKiPiS2_
	.p2align	8
	.type	_ZN9rocsparseL19nnz_compress_kernelILi1024ELi512ELi2EdEEvi21rocsparse_index_base_PKT2_PKiPiS2_,@function
_ZN9rocsparseL19nnz_compress_kernelILi1024ELi512ELi2EdEEvi21rocsparse_index_base_PKT2_PKiPiS2_: ; @_ZN9rocsparseL19nnz_compress_kernelILi1024ELi512ELi2EdEEvi21rocsparse_index_base_PKT2_PKiPiS2_
; %bb.0:
	s_load_dwordx2 s[0:1], s[4:5], 0x0
	v_lshrrev_b32_e32 v1, 1, v0
	v_lshl_or_b32 v1, s6, 9, v1
	s_waitcnt lgkmcnt(0)
	v_cmp_gt_i32_e32 vcc, s0, v1
	s_and_saveexec_b64 s[2:3], vcc
	s_cbranch_execz .LBB6_6
; %bb.1:
	s_load_dwordx4 s[8:11], s[4:5], 0x10
	v_ashrrev_i32_e32 v2, 31, v1
	v_lshlrev_b64 v[1:2], 2, v[1:2]
	v_and_b32_e32 v0, 1, v0
	v_subrev_u32_e32 v5, s1, v0
	s_waitcnt lgkmcnt(0)
	v_mov_b32_e32 v4, s9
	v_add_co_u32_e32 v3, vcc, s8, v1
	v_addc_co_u32_e32 v4, vcc, v4, v2, vcc
	global_load_dwordx2 v[3:4], v[3:4], off
	v_mov_b32_e32 v6, 0
	s_waitcnt vmcnt(0)
	v_subrev_u32_e32 v0, s1, v4
	v_add_u32_e32 v3, v3, v5
	v_cmp_lt_i32_e32 vcc, v3, v0
	s_and_saveexec_b64 s[6:7], vcc
	s_cbranch_execz .LBB6_5
; %bb.2:
	s_load_dwordx2 s[0:1], s[4:5], 0x8
	s_load_dwordx2 s[8:9], s[4:5], 0x20
	v_ashrrev_i32_e32 v4, 31, v3
	v_lshlrev_b64 v[4:5], 3, v[3:4]
	s_mov_b32 s12, 0
	s_waitcnt lgkmcnt(0)
	v_mov_b32_e32 v6, s1
	v_add_co_u32_e32 v4, vcc, s0, v4
	v_addc_co_u32_e32 v5, vcc, v6, v5, vcc
	v_mov_b32_e32 v6, 0
	s_mov_b32 s13, 0x38100000
	s_mov_b64 s[4:5], 0
.LBB6_3:                                ; =>This Inner Loop Header: Depth=1
	global_load_dwordx2 v[7:8], v[4:5], off
	v_add_co_u32_e64 v4, s[2:3], 16, v4
	v_add_u32_e32 v3, 2, v3
	v_addc_co_u32_e64 v5, s[2:3], 0, v5, s[2:3]
	v_cmp_ge_i32_e64 s[2:3], v3, v0
	s_waitcnt vmcnt(0)
	v_cmp_gt_f64_e32 vcc, 0, v[7:8]
	v_xor_b32_e32 v9, 0x80000000, v8
	v_cndmask_b32_e32 v8, v8, v9, vcc
	v_cmp_lt_f64_e32 vcc, s[8:9], v[7:8]
	v_cmp_lt_f64_e64 s[0:1], s[12:13], v[7:8]
	s_and_b64 vcc, vcc, s[0:1]
	s_or_b64 s[4:5], s[2:3], s[4:5]
	v_addc_co_u32_e32 v6, vcc, 0, v6, vcc
	s_andn2_b64 exec, exec, s[4:5]
	s_cbranch_execnz .LBB6_3
; %bb.4:
	s_or_b64 exec, exec, s[4:5]
.LBB6_5:
	s_or_b64 exec, exec, s[6:7]
	v_mbcnt_lo_u32_b32 v3, -1, 0
	v_mov_b32_dpp v0, v6 row_shr:1 row_mask:0xf bank_mask:0xf
	v_mbcnt_hi_u32_b32 v3, -1, v3
	v_add_u32_e32 v0, v0, v6
	v_lshl_or_b32 v3, v3, 2, 4
	ds_bpermute_b32 v3, v3, v0
	v_mov_b32_e32 v4, s11
	v_add_co_u32_e32 v0, vcc, s10, v1
	v_addc_co_u32_e32 v1, vcc, v4, v2, vcc
	s_waitcnt lgkmcnt(0)
	global_store_dword v[0:1], v3, off
.LBB6_6:
	s_endpgm
	.section	.rodata,"a",@progbits
	.p2align	6, 0x0
	.amdhsa_kernel _ZN9rocsparseL19nnz_compress_kernelILi1024ELi512ELi2EdEEvi21rocsparse_index_base_PKT2_PKiPiS2_
		.amdhsa_group_segment_fixed_size 0
		.amdhsa_private_segment_fixed_size 0
		.amdhsa_kernarg_size 40
		.amdhsa_user_sgpr_count 6
		.amdhsa_user_sgpr_private_segment_buffer 1
		.amdhsa_user_sgpr_dispatch_ptr 0
		.amdhsa_user_sgpr_queue_ptr 0
		.amdhsa_user_sgpr_kernarg_segment_ptr 1
		.amdhsa_user_sgpr_dispatch_id 0
		.amdhsa_user_sgpr_flat_scratch_init 0
		.amdhsa_user_sgpr_private_segment_size 0
		.amdhsa_uses_dynamic_stack 0
		.amdhsa_system_sgpr_private_segment_wavefront_offset 0
		.amdhsa_system_sgpr_workgroup_id_x 1
		.amdhsa_system_sgpr_workgroup_id_y 0
		.amdhsa_system_sgpr_workgroup_id_z 0
		.amdhsa_system_sgpr_workgroup_info 0
		.amdhsa_system_vgpr_workitem_id 0
		.amdhsa_next_free_vgpr 10
		.amdhsa_next_free_sgpr 14
		.amdhsa_reserve_vcc 1
		.amdhsa_reserve_flat_scratch 0
		.amdhsa_float_round_mode_32 0
		.amdhsa_float_round_mode_16_64 0
		.amdhsa_float_denorm_mode_32 3
		.amdhsa_float_denorm_mode_16_64 3
		.amdhsa_dx10_clamp 1
		.amdhsa_ieee_mode 1
		.amdhsa_fp16_overflow 0
		.amdhsa_exception_fp_ieee_invalid_op 0
		.amdhsa_exception_fp_denorm_src 0
		.amdhsa_exception_fp_ieee_div_zero 0
		.amdhsa_exception_fp_ieee_overflow 0
		.amdhsa_exception_fp_ieee_underflow 0
		.amdhsa_exception_fp_ieee_inexact 0
		.amdhsa_exception_int_div_zero 0
	.end_amdhsa_kernel
	.section	.text._ZN9rocsparseL19nnz_compress_kernelILi1024ELi512ELi2EdEEvi21rocsparse_index_base_PKT2_PKiPiS2_,"axG",@progbits,_ZN9rocsparseL19nnz_compress_kernelILi1024ELi512ELi2EdEEvi21rocsparse_index_base_PKT2_PKiPiS2_,comdat
.Lfunc_end6:
	.size	_ZN9rocsparseL19nnz_compress_kernelILi1024ELi512ELi2EdEEvi21rocsparse_index_base_PKT2_PKiPiS2_, .Lfunc_end6-_ZN9rocsparseL19nnz_compress_kernelILi1024ELi512ELi2EdEEvi21rocsparse_index_base_PKT2_PKiPiS2_
                                        ; -- End function
	.set _ZN9rocsparseL19nnz_compress_kernelILi1024ELi512ELi2EdEEvi21rocsparse_index_base_PKT2_PKiPiS2_.num_vgpr, 10
	.set _ZN9rocsparseL19nnz_compress_kernelILi1024ELi512ELi2EdEEvi21rocsparse_index_base_PKT2_PKiPiS2_.num_agpr, 0
	.set _ZN9rocsparseL19nnz_compress_kernelILi1024ELi512ELi2EdEEvi21rocsparse_index_base_PKT2_PKiPiS2_.numbered_sgpr, 14
	.set _ZN9rocsparseL19nnz_compress_kernelILi1024ELi512ELi2EdEEvi21rocsparse_index_base_PKT2_PKiPiS2_.num_named_barrier, 0
	.set _ZN9rocsparseL19nnz_compress_kernelILi1024ELi512ELi2EdEEvi21rocsparse_index_base_PKT2_PKiPiS2_.private_seg_size, 0
	.set _ZN9rocsparseL19nnz_compress_kernelILi1024ELi512ELi2EdEEvi21rocsparse_index_base_PKT2_PKiPiS2_.uses_vcc, 1
	.set _ZN9rocsparseL19nnz_compress_kernelILi1024ELi512ELi2EdEEvi21rocsparse_index_base_PKT2_PKiPiS2_.uses_flat_scratch, 0
	.set _ZN9rocsparseL19nnz_compress_kernelILi1024ELi512ELi2EdEEvi21rocsparse_index_base_PKT2_PKiPiS2_.has_dyn_sized_stack, 0
	.set _ZN9rocsparseL19nnz_compress_kernelILi1024ELi512ELi2EdEEvi21rocsparse_index_base_PKT2_PKiPiS2_.has_recursion, 0
	.set _ZN9rocsparseL19nnz_compress_kernelILi1024ELi512ELi2EdEEvi21rocsparse_index_base_PKT2_PKiPiS2_.has_indirect_call, 0
	.section	.AMDGPU.csdata,"",@progbits
; Kernel info:
; codeLenInByte = 348
; TotalNumSgprs: 18
; NumVgprs: 10
; ScratchSize: 0
; MemoryBound: 0
; FloatMode: 240
; IeeeMode: 1
; LDSByteSize: 0 bytes/workgroup (compile time only)
; SGPRBlocks: 2
; VGPRBlocks: 2
; NumSGPRsForWavesPerEU: 18
; NumVGPRsForWavesPerEU: 10
; Occupancy: 10
; WaveLimiterHint : 0
; COMPUTE_PGM_RSRC2:SCRATCH_EN: 0
; COMPUTE_PGM_RSRC2:USER_SGPR: 6
; COMPUTE_PGM_RSRC2:TRAP_HANDLER: 0
; COMPUTE_PGM_RSRC2:TGID_X_EN: 1
; COMPUTE_PGM_RSRC2:TGID_Y_EN: 0
; COMPUTE_PGM_RSRC2:TGID_Z_EN: 0
; COMPUTE_PGM_RSRC2:TIDIG_COMP_CNT: 0
	.section	.text._ZN9rocsparseL19nnz_compress_kernelILi1024ELi256ELi4EdEEvi21rocsparse_index_base_PKT2_PKiPiS2_,"axG",@progbits,_ZN9rocsparseL19nnz_compress_kernelILi1024ELi256ELi4EdEEvi21rocsparse_index_base_PKT2_PKiPiS2_,comdat
	.globl	_ZN9rocsparseL19nnz_compress_kernelILi1024ELi256ELi4EdEEvi21rocsparse_index_base_PKT2_PKiPiS2_ ; -- Begin function _ZN9rocsparseL19nnz_compress_kernelILi1024ELi256ELi4EdEEvi21rocsparse_index_base_PKT2_PKiPiS2_
	.p2align	8
	.type	_ZN9rocsparseL19nnz_compress_kernelILi1024ELi256ELi4EdEEvi21rocsparse_index_base_PKT2_PKiPiS2_,@function
_ZN9rocsparseL19nnz_compress_kernelILi1024ELi256ELi4EdEEvi21rocsparse_index_base_PKT2_PKiPiS2_: ; @_ZN9rocsparseL19nnz_compress_kernelILi1024ELi256ELi4EdEEvi21rocsparse_index_base_PKT2_PKiPiS2_
; %bb.0:
	s_load_dwordx2 s[0:1], s[4:5], 0x0
	v_lshrrev_b32_e32 v1, 2, v0
	v_lshl_or_b32 v1, s6, 8, v1
	s_waitcnt lgkmcnt(0)
	v_cmp_gt_i32_e32 vcc, s0, v1
	s_and_saveexec_b64 s[2:3], vcc
	s_cbranch_execz .LBB7_6
; %bb.1:
	s_load_dwordx4 s[8:11], s[4:5], 0x10
	v_ashrrev_i32_e32 v2, 31, v1
	v_lshlrev_b64 v[1:2], 2, v[1:2]
	v_and_b32_e32 v0, 3, v0
	v_subrev_u32_e32 v5, s1, v0
	s_waitcnt lgkmcnt(0)
	v_mov_b32_e32 v4, s9
	v_add_co_u32_e32 v3, vcc, s8, v1
	v_addc_co_u32_e32 v4, vcc, v4, v2, vcc
	global_load_dwordx2 v[3:4], v[3:4], off
	v_mov_b32_e32 v6, 0
	s_waitcnt vmcnt(0)
	v_subrev_u32_e32 v0, s1, v4
	v_add_u32_e32 v3, v3, v5
	v_cmp_lt_i32_e32 vcc, v3, v0
	s_and_saveexec_b64 s[6:7], vcc
	s_cbranch_execz .LBB7_5
; %bb.2:
	s_load_dwordx2 s[0:1], s[4:5], 0x8
	s_load_dwordx2 s[8:9], s[4:5], 0x20
	v_ashrrev_i32_e32 v4, 31, v3
	v_lshlrev_b64 v[4:5], 3, v[3:4]
	s_mov_b32 s12, 0
	s_waitcnt lgkmcnt(0)
	v_mov_b32_e32 v6, s1
	v_add_co_u32_e32 v4, vcc, s0, v4
	v_addc_co_u32_e32 v5, vcc, v6, v5, vcc
	v_mov_b32_e32 v6, 0
	s_mov_b32 s13, 0x38100000
	s_mov_b64 s[4:5], 0
.LBB7_3:                                ; =>This Inner Loop Header: Depth=1
	global_load_dwordx2 v[7:8], v[4:5], off
	v_add_co_u32_e64 v4, s[2:3], 32, v4
	v_add_u32_e32 v3, 4, v3
	v_addc_co_u32_e64 v5, s[2:3], 0, v5, s[2:3]
	v_cmp_ge_i32_e64 s[2:3], v3, v0
	s_waitcnt vmcnt(0)
	v_cmp_gt_f64_e32 vcc, 0, v[7:8]
	v_xor_b32_e32 v9, 0x80000000, v8
	v_cndmask_b32_e32 v8, v8, v9, vcc
	v_cmp_lt_f64_e32 vcc, s[8:9], v[7:8]
	v_cmp_lt_f64_e64 s[0:1], s[12:13], v[7:8]
	s_and_b64 vcc, vcc, s[0:1]
	s_or_b64 s[4:5], s[2:3], s[4:5]
	v_addc_co_u32_e32 v6, vcc, 0, v6, vcc
	s_andn2_b64 exec, exec, s[4:5]
	s_cbranch_execnz .LBB7_3
; %bb.4:
	s_or_b64 exec, exec, s[4:5]
.LBB7_5:
	s_or_b64 exec, exec, s[6:7]
	v_mov_b32_dpp v0, v6 row_shr:1 row_mask:0xf bank_mask:0xf
	v_add_u32_e32 v0, v0, v6
	v_mov_b32_e32 v4, s11
	s_nop 0
	v_mov_b32_dpp v3, v0 row_shr:2 row_mask:0xf bank_mask:0xf
	v_add_u32_e32 v0, v0, v3
	v_mbcnt_lo_u32_b32 v3, -1, 0
	v_mbcnt_hi_u32_b32 v3, -1, v3
	v_lshl_or_b32 v3, v3, 2, 12
	ds_bpermute_b32 v3, v3, v0
	v_add_co_u32_e32 v0, vcc, s10, v1
	v_addc_co_u32_e32 v1, vcc, v4, v2, vcc
	s_waitcnt lgkmcnt(0)
	global_store_dword v[0:1], v3, off
.LBB7_6:
	s_endpgm
	.section	.rodata,"a",@progbits
	.p2align	6, 0x0
	.amdhsa_kernel _ZN9rocsparseL19nnz_compress_kernelILi1024ELi256ELi4EdEEvi21rocsparse_index_base_PKT2_PKiPiS2_
		.amdhsa_group_segment_fixed_size 0
		.amdhsa_private_segment_fixed_size 0
		.amdhsa_kernarg_size 40
		.amdhsa_user_sgpr_count 6
		.amdhsa_user_sgpr_private_segment_buffer 1
		.amdhsa_user_sgpr_dispatch_ptr 0
		.amdhsa_user_sgpr_queue_ptr 0
		.amdhsa_user_sgpr_kernarg_segment_ptr 1
		.amdhsa_user_sgpr_dispatch_id 0
		.amdhsa_user_sgpr_flat_scratch_init 0
		.amdhsa_user_sgpr_private_segment_size 0
		.amdhsa_uses_dynamic_stack 0
		.amdhsa_system_sgpr_private_segment_wavefront_offset 0
		.amdhsa_system_sgpr_workgroup_id_x 1
		.amdhsa_system_sgpr_workgroup_id_y 0
		.amdhsa_system_sgpr_workgroup_id_z 0
		.amdhsa_system_sgpr_workgroup_info 0
		.amdhsa_system_vgpr_workitem_id 0
		.amdhsa_next_free_vgpr 10
		.amdhsa_next_free_sgpr 14
		.amdhsa_reserve_vcc 1
		.amdhsa_reserve_flat_scratch 0
		.amdhsa_float_round_mode_32 0
		.amdhsa_float_round_mode_16_64 0
		.amdhsa_float_denorm_mode_32 3
		.amdhsa_float_denorm_mode_16_64 3
		.amdhsa_dx10_clamp 1
		.amdhsa_ieee_mode 1
		.amdhsa_fp16_overflow 0
		.amdhsa_exception_fp_ieee_invalid_op 0
		.amdhsa_exception_fp_denorm_src 0
		.amdhsa_exception_fp_ieee_div_zero 0
		.amdhsa_exception_fp_ieee_overflow 0
		.amdhsa_exception_fp_ieee_underflow 0
		.amdhsa_exception_fp_ieee_inexact 0
		.amdhsa_exception_int_div_zero 0
	.end_amdhsa_kernel
	.section	.text._ZN9rocsparseL19nnz_compress_kernelILi1024ELi256ELi4EdEEvi21rocsparse_index_base_PKT2_PKiPiS2_,"axG",@progbits,_ZN9rocsparseL19nnz_compress_kernelILi1024ELi256ELi4EdEEvi21rocsparse_index_base_PKT2_PKiPiS2_,comdat
.Lfunc_end7:
	.size	_ZN9rocsparseL19nnz_compress_kernelILi1024ELi256ELi4EdEEvi21rocsparse_index_base_PKT2_PKiPiS2_, .Lfunc_end7-_ZN9rocsparseL19nnz_compress_kernelILi1024ELi256ELi4EdEEvi21rocsparse_index_base_PKT2_PKiPiS2_
                                        ; -- End function
	.set _ZN9rocsparseL19nnz_compress_kernelILi1024ELi256ELi4EdEEvi21rocsparse_index_base_PKT2_PKiPiS2_.num_vgpr, 10
	.set _ZN9rocsparseL19nnz_compress_kernelILi1024ELi256ELi4EdEEvi21rocsparse_index_base_PKT2_PKiPiS2_.num_agpr, 0
	.set _ZN9rocsparseL19nnz_compress_kernelILi1024ELi256ELi4EdEEvi21rocsparse_index_base_PKT2_PKiPiS2_.numbered_sgpr, 14
	.set _ZN9rocsparseL19nnz_compress_kernelILi1024ELi256ELi4EdEEvi21rocsparse_index_base_PKT2_PKiPiS2_.num_named_barrier, 0
	.set _ZN9rocsparseL19nnz_compress_kernelILi1024ELi256ELi4EdEEvi21rocsparse_index_base_PKT2_PKiPiS2_.private_seg_size, 0
	.set _ZN9rocsparseL19nnz_compress_kernelILi1024ELi256ELi4EdEEvi21rocsparse_index_base_PKT2_PKiPiS2_.uses_vcc, 1
	.set _ZN9rocsparseL19nnz_compress_kernelILi1024ELi256ELi4EdEEvi21rocsparse_index_base_PKT2_PKiPiS2_.uses_flat_scratch, 0
	.set _ZN9rocsparseL19nnz_compress_kernelILi1024ELi256ELi4EdEEvi21rocsparse_index_base_PKT2_PKiPiS2_.has_dyn_sized_stack, 0
	.set _ZN9rocsparseL19nnz_compress_kernelILi1024ELi256ELi4EdEEvi21rocsparse_index_base_PKT2_PKiPiS2_.has_recursion, 0
	.set _ZN9rocsparseL19nnz_compress_kernelILi1024ELi256ELi4EdEEvi21rocsparse_index_base_PKT2_PKiPiS2_.has_indirect_call, 0
	.section	.AMDGPU.csdata,"",@progbits
; Kernel info:
; codeLenInByte = 364
; TotalNumSgprs: 18
; NumVgprs: 10
; ScratchSize: 0
; MemoryBound: 0
; FloatMode: 240
; IeeeMode: 1
; LDSByteSize: 0 bytes/workgroup (compile time only)
; SGPRBlocks: 2
; VGPRBlocks: 2
; NumSGPRsForWavesPerEU: 18
; NumVGPRsForWavesPerEU: 10
; Occupancy: 10
; WaveLimiterHint : 0
; COMPUTE_PGM_RSRC2:SCRATCH_EN: 0
; COMPUTE_PGM_RSRC2:USER_SGPR: 6
; COMPUTE_PGM_RSRC2:TRAP_HANDLER: 0
; COMPUTE_PGM_RSRC2:TGID_X_EN: 1
; COMPUTE_PGM_RSRC2:TGID_Y_EN: 0
; COMPUTE_PGM_RSRC2:TGID_Z_EN: 0
; COMPUTE_PGM_RSRC2:TIDIG_COMP_CNT: 0
	.section	.text._ZN9rocsparseL19nnz_compress_kernelILi1024ELi128ELi8EdEEvi21rocsparse_index_base_PKT2_PKiPiS2_,"axG",@progbits,_ZN9rocsparseL19nnz_compress_kernelILi1024ELi128ELi8EdEEvi21rocsparse_index_base_PKT2_PKiPiS2_,comdat
	.globl	_ZN9rocsparseL19nnz_compress_kernelILi1024ELi128ELi8EdEEvi21rocsparse_index_base_PKT2_PKiPiS2_ ; -- Begin function _ZN9rocsparseL19nnz_compress_kernelILi1024ELi128ELi8EdEEvi21rocsparse_index_base_PKT2_PKiPiS2_
	.p2align	8
	.type	_ZN9rocsparseL19nnz_compress_kernelILi1024ELi128ELi8EdEEvi21rocsparse_index_base_PKT2_PKiPiS2_,@function
_ZN9rocsparseL19nnz_compress_kernelILi1024ELi128ELi8EdEEvi21rocsparse_index_base_PKT2_PKiPiS2_: ; @_ZN9rocsparseL19nnz_compress_kernelILi1024ELi128ELi8EdEEvi21rocsparse_index_base_PKT2_PKiPiS2_
; %bb.0:
	s_load_dwordx2 s[0:1], s[4:5], 0x0
	v_lshrrev_b32_e32 v1, 3, v0
	v_lshl_or_b32 v1, s6, 7, v1
	s_waitcnt lgkmcnt(0)
	v_cmp_gt_i32_e32 vcc, s0, v1
	s_and_saveexec_b64 s[2:3], vcc
	s_cbranch_execz .LBB8_6
; %bb.1:
	s_load_dwordx4 s[8:11], s[4:5], 0x10
	v_ashrrev_i32_e32 v2, 31, v1
	v_lshlrev_b64 v[1:2], 2, v[1:2]
	v_and_b32_e32 v0, 7, v0
	v_subrev_u32_e32 v5, s1, v0
	s_waitcnt lgkmcnt(0)
	v_mov_b32_e32 v4, s9
	v_add_co_u32_e32 v3, vcc, s8, v1
	v_addc_co_u32_e32 v4, vcc, v4, v2, vcc
	global_load_dwordx2 v[3:4], v[3:4], off
	v_mov_b32_e32 v6, 0
	s_waitcnt vmcnt(0)
	v_subrev_u32_e32 v0, s1, v4
	v_add_u32_e32 v3, v3, v5
	v_cmp_lt_i32_e32 vcc, v3, v0
	s_and_saveexec_b64 s[6:7], vcc
	s_cbranch_execz .LBB8_5
; %bb.2:
	s_load_dwordx2 s[0:1], s[4:5], 0x8
	s_load_dwordx2 s[8:9], s[4:5], 0x20
	v_ashrrev_i32_e32 v4, 31, v3
	v_lshlrev_b64 v[4:5], 3, v[3:4]
	s_mov_b32 s12, 0
	s_waitcnt lgkmcnt(0)
	v_mov_b32_e32 v6, s1
	v_add_co_u32_e32 v4, vcc, s0, v4
	v_addc_co_u32_e32 v5, vcc, v6, v5, vcc
	v_mov_b32_e32 v6, 0
	s_mov_b32 s13, 0x38100000
	s_mov_b64 s[4:5], 0
.LBB8_3:                                ; =>This Inner Loop Header: Depth=1
	global_load_dwordx2 v[7:8], v[4:5], off
	v_add_co_u32_e64 v4, s[2:3], 64, v4
	v_add_u32_e32 v3, 8, v3
	v_addc_co_u32_e64 v5, s[2:3], 0, v5, s[2:3]
	v_cmp_ge_i32_e64 s[2:3], v3, v0
	s_waitcnt vmcnt(0)
	v_cmp_gt_f64_e32 vcc, 0, v[7:8]
	v_xor_b32_e32 v9, 0x80000000, v8
	v_cndmask_b32_e32 v8, v8, v9, vcc
	v_cmp_lt_f64_e32 vcc, s[8:9], v[7:8]
	v_cmp_lt_f64_e64 s[0:1], s[12:13], v[7:8]
	s_and_b64 vcc, vcc, s[0:1]
	s_or_b64 s[4:5], s[2:3], s[4:5]
	v_addc_co_u32_e32 v6, vcc, 0, v6, vcc
	s_andn2_b64 exec, exec, s[4:5]
	s_cbranch_execnz .LBB8_3
; %bb.4:
	s_or_b64 exec, exec, s[4:5]
.LBB8_5:
	s_or_b64 exec, exec, s[6:7]
	v_mov_b32_dpp v0, v6 row_shr:1 row_mask:0xf bank_mask:0xf
	v_add_u32_e32 v0, v0, v6
	v_mov_b32_e32 v4, s11
	s_nop 0
	v_mov_b32_dpp v3, v0 row_shr:2 row_mask:0xf bank_mask:0xf
	v_add_u32_e32 v0, v0, v3
	s_nop 1
	v_mov_b32_dpp v3, v0 row_shr:4 row_mask:0xf bank_mask:0xe
	v_add_u32_e32 v0, v0, v3
	v_mbcnt_lo_u32_b32 v3, -1, 0
	v_mbcnt_hi_u32_b32 v3, -1, v3
	v_lshl_or_b32 v3, v3, 2, 28
	ds_bpermute_b32 v3, v3, v0
	v_add_co_u32_e32 v0, vcc, s10, v1
	v_addc_co_u32_e32 v1, vcc, v4, v2, vcc
	s_waitcnt lgkmcnt(0)
	global_store_dword v[0:1], v3, off
.LBB8_6:
	s_endpgm
	.section	.rodata,"a",@progbits
	.p2align	6, 0x0
	.amdhsa_kernel _ZN9rocsparseL19nnz_compress_kernelILi1024ELi128ELi8EdEEvi21rocsparse_index_base_PKT2_PKiPiS2_
		.amdhsa_group_segment_fixed_size 0
		.amdhsa_private_segment_fixed_size 0
		.amdhsa_kernarg_size 40
		.amdhsa_user_sgpr_count 6
		.amdhsa_user_sgpr_private_segment_buffer 1
		.amdhsa_user_sgpr_dispatch_ptr 0
		.amdhsa_user_sgpr_queue_ptr 0
		.amdhsa_user_sgpr_kernarg_segment_ptr 1
		.amdhsa_user_sgpr_dispatch_id 0
		.amdhsa_user_sgpr_flat_scratch_init 0
		.amdhsa_user_sgpr_private_segment_size 0
		.amdhsa_uses_dynamic_stack 0
		.amdhsa_system_sgpr_private_segment_wavefront_offset 0
		.amdhsa_system_sgpr_workgroup_id_x 1
		.amdhsa_system_sgpr_workgroup_id_y 0
		.amdhsa_system_sgpr_workgroup_id_z 0
		.amdhsa_system_sgpr_workgroup_info 0
		.amdhsa_system_vgpr_workitem_id 0
		.amdhsa_next_free_vgpr 10
		.amdhsa_next_free_sgpr 14
		.amdhsa_reserve_vcc 1
		.amdhsa_reserve_flat_scratch 0
		.amdhsa_float_round_mode_32 0
		.amdhsa_float_round_mode_16_64 0
		.amdhsa_float_denorm_mode_32 3
		.amdhsa_float_denorm_mode_16_64 3
		.amdhsa_dx10_clamp 1
		.amdhsa_ieee_mode 1
		.amdhsa_fp16_overflow 0
		.amdhsa_exception_fp_ieee_invalid_op 0
		.amdhsa_exception_fp_denorm_src 0
		.amdhsa_exception_fp_ieee_div_zero 0
		.amdhsa_exception_fp_ieee_overflow 0
		.amdhsa_exception_fp_ieee_underflow 0
		.amdhsa_exception_fp_ieee_inexact 0
		.amdhsa_exception_int_div_zero 0
	.end_amdhsa_kernel
	.section	.text._ZN9rocsparseL19nnz_compress_kernelILi1024ELi128ELi8EdEEvi21rocsparse_index_base_PKT2_PKiPiS2_,"axG",@progbits,_ZN9rocsparseL19nnz_compress_kernelILi1024ELi128ELi8EdEEvi21rocsparse_index_base_PKT2_PKiPiS2_,comdat
.Lfunc_end8:
	.size	_ZN9rocsparseL19nnz_compress_kernelILi1024ELi128ELi8EdEEvi21rocsparse_index_base_PKT2_PKiPiS2_, .Lfunc_end8-_ZN9rocsparseL19nnz_compress_kernelILi1024ELi128ELi8EdEEvi21rocsparse_index_base_PKT2_PKiPiS2_
                                        ; -- End function
	.set _ZN9rocsparseL19nnz_compress_kernelILi1024ELi128ELi8EdEEvi21rocsparse_index_base_PKT2_PKiPiS2_.num_vgpr, 10
	.set _ZN9rocsparseL19nnz_compress_kernelILi1024ELi128ELi8EdEEvi21rocsparse_index_base_PKT2_PKiPiS2_.num_agpr, 0
	.set _ZN9rocsparseL19nnz_compress_kernelILi1024ELi128ELi8EdEEvi21rocsparse_index_base_PKT2_PKiPiS2_.numbered_sgpr, 14
	.set _ZN9rocsparseL19nnz_compress_kernelILi1024ELi128ELi8EdEEvi21rocsparse_index_base_PKT2_PKiPiS2_.num_named_barrier, 0
	.set _ZN9rocsparseL19nnz_compress_kernelILi1024ELi128ELi8EdEEvi21rocsparse_index_base_PKT2_PKiPiS2_.private_seg_size, 0
	.set _ZN9rocsparseL19nnz_compress_kernelILi1024ELi128ELi8EdEEvi21rocsparse_index_base_PKT2_PKiPiS2_.uses_vcc, 1
	.set _ZN9rocsparseL19nnz_compress_kernelILi1024ELi128ELi8EdEEvi21rocsparse_index_base_PKT2_PKiPiS2_.uses_flat_scratch, 0
	.set _ZN9rocsparseL19nnz_compress_kernelILi1024ELi128ELi8EdEEvi21rocsparse_index_base_PKT2_PKiPiS2_.has_dyn_sized_stack, 0
	.set _ZN9rocsparseL19nnz_compress_kernelILi1024ELi128ELi8EdEEvi21rocsparse_index_base_PKT2_PKiPiS2_.has_recursion, 0
	.set _ZN9rocsparseL19nnz_compress_kernelILi1024ELi128ELi8EdEEvi21rocsparse_index_base_PKT2_PKiPiS2_.has_indirect_call, 0
	.section	.AMDGPU.csdata,"",@progbits
; Kernel info:
; codeLenInByte = 380
; TotalNumSgprs: 18
; NumVgprs: 10
; ScratchSize: 0
; MemoryBound: 0
; FloatMode: 240
; IeeeMode: 1
; LDSByteSize: 0 bytes/workgroup (compile time only)
; SGPRBlocks: 2
; VGPRBlocks: 2
; NumSGPRsForWavesPerEU: 18
; NumVGPRsForWavesPerEU: 10
; Occupancy: 10
; WaveLimiterHint : 0
; COMPUTE_PGM_RSRC2:SCRATCH_EN: 0
; COMPUTE_PGM_RSRC2:USER_SGPR: 6
; COMPUTE_PGM_RSRC2:TRAP_HANDLER: 0
; COMPUTE_PGM_RSRC2:TGID_X_EN: 1
; COMPUTE_PGM_RSRC2:TGID_Y_EN: 0
; COMPUTE_PGM_RSRC2:TGID_Z_EN: 0
; COMPUTE_PGM_RSRC2:TIDIG_COMP_CNT: 0
	.section	.text._ZN9rocsparseL19nnz_compress_kernelILi1024ELi64ELi16EdEEvi21rocsparse_index_base_PKT2_PKiPiS2_,"axG",@progbits,_ZN9rocsparseL19nnz_compress_kernelILi1024ELi64ELi16EdEEvi21rocsparse_index_base_PKT2_PKiPiS2_,comdat
	.globl	_ZN9rocsparseL19nnz_compress_kernelILi1024ELi64ELi16EdEEvi21rocsparse_index_base_PKT2_PKiPiS2_ ; -- Begin function _ZN9rocsparseL19nnz_compress_kernelILi1024ELi64ELi16EdEEvi21rocsparse_index_base_PKT2_PKiPiS2_
	.p2align	8
	.type	_ZN9rocsparseL19nnz_compress_kernelILi1024ELi64ELi16EdEEvi21rocsparse_index_base_PKT2_PKiPiS2_,@function
_ZN9rocsparseL19nnz_compress_kernelILi1024ELi64ELi16EdEEvi21rocsparse_index_base_PKT2_PKiPiS2_: ; @_ZN9rocsparseL19nnz_compress_kernelILi1024ELi64ELi16EdEEvi21rocsparse_index_base_PKT2_PKiPiS2_
; %bb.0:
	s_load_dwordx2 s[0:1], s[4:5], 0x0
	v_lshrrev_b32_e32 v1, 4, v0
	v_lshl_or_b32 v1, s6, 6, v1
	s_waitcnt lgkmcnt(0)
	v_cmp_gt_i32_e32 vcc, s0, v1
	s_and_saveexec_b64 s[2:3], vcc
	s_cbranch_execz .LBB9_6
; %bb.1:
	s_load_dwordx4 s[8:11], s[4:5], 0x10
	v_ashrrev_i32_e32 v2, 31, v1
	v_lshlrev_b64 v[1:2], 2, v[1:2]
	v_and_b32_e32 v0, 15, v0
	v_subrev_u32_e32 v5, s1, v0
	s_waitcnt lgkmcnt(0)
	v_mov_b32_e32 v4, s9
	v_add_co_u32_e32 v3, vcc, s8, v1
	v_addc_co_u32_e32 v4, vcc, v4, v2, vcc
	global_load_dwordx2 v[3:4], v[3:4], off
	v_mov_b32_e32 v6, 0
	s_waitcnt vmcnt(0)
	v_subrev_u32_e32 v0, s1, v4
	v_add_u32_e32 v3, v3, v5
	v_cmp_lt_i32_e32 vcc, v3, v0
	s_and_saveexec_b64 s[6:7], vcc
	s_cbranch_execz .LBB9_5
; %bb.2:
	s_load_dwordx2 s[0:1], s[4:5], 0x8
	s_load_dwordx2 s[8:9], s[4:5], 0x20
	v_ashrrev_i32_e32 v4, 31, v3
	v_lshlrev_b64 v[4:5], 3, v[3:4]
	s_mov_b32 s12, 0
	s_waitcnt lgkmcnt(0)
	v_mov_b32_e32 v6, s1
	v_add_co_u32_e32 v4, vcc, s0, v4
	v_addc_co_u32_e32 v5, vcc, v6, v5, vcc
	v_mov_b32_e32 v6, 0
	s_mov_b32 s13, 0x38100000
	s_mov_b64 s[4:5], 0
.LBB9_3:                                ; =>This Inner Loop Header: Depth=1
	global_load_dwordx2 v[7:8], v[4:5], off
	v_add_u32_e32 v3, 16, v3
	s_waitcnt vmcnt(0)
	v_cmp_gt_f64_e32 vcc, 0, v[7:8]
	v_xor_b32_e32 v9, 0x80000000, v8
	v_cndmask_b32_e32 v8, v8, v9, vcc
	v_cmp_lt_f64_e64 s[0:1], s[8:9], v[7:8]
	v_cmp_lt_f64_e64 s[2:3], s[12:13], v[7:8]
	v_add_co_u32_e32 v4, vcc, 0x80, v4
	v_addc_co_u32_e32 v5, vcc, 0, v5, vcc
	v_cmp_ge_i32_e32 vcc, v3, v0
	s_and_b64 s[0:1], s[0:1], s[2:3]
	s_or_b64 s[4:5], vcc, s[4:5]
	v_addc_co_u32_e64 v6, vcc, 0, v6, s[0:1]
	s_andn2_b64 exec, exec, s[4:5]
	s_cbranch_execnz .LBB9_3
; %bb.4:
	s_or_b64 exec, exec, s[4:5]
.LBB9_5:
	s_or_b64 exec, exec, s[6:7]
	v_mov_b32_dpp v0, v6 row_shr:1 row_mask:0xf bank_mask:0xf
	v_add_u32_e32 v0, v0, v6
	v_mov_b32_e32 v4, s11
	s_nop 0
	v_mov_b32_dpp v3, v0 row_shr:2 row_mask:0xf bank_mask:0xf
	v_add_u32_e32 v0, v0, v3
	s_nop 1
	v_mov_b32_dpp v3, v0 row_shr:4 row_mask:0xf bank_mask:0xe
	v_add_u32_e32 v0, v0, v3
	;; [unrolled: 3-line block ×3, first 2 shown]
	v_mbcnt_lo_u32_b32 v3, -1, 0
	v_mbcnt_hi_u32_b32 v3, -1, v3
	v_lshl_or_b32 v3, v3, 2, 60
	ds_bpermute_b32 v3, v3, v0
	v_add_co_u32_e32 v0, vcc, s10, v1
	v_addc_co_u32_e32 v1, vcc, v4, v2, vcc
	s_waitcnt lgkmcnt(0)
	global_store_dword v[0:1], v3, off
.LBB9_6:
	s_endpgm
	.section	.rodata,"a",@progbits
	.p2align	6, 0x0
	.amdhsa_kernel _ZN9rocsparseL19nnz_compress_kernelILi1024ELi64ELi16EdEEvi21rocsparse_index_base_PKT2_PKiPiS2_
		.amdhsa_group_segment_fixed_size 0
		.amdhsa_private_segment_fixed_size 0
		.amdhsa_kernarg_size 40
		.amdhsa_user_sgpr_count 6
		.amdhsa_user_sgpr_private_segment_buffer 1
		.amdhsa_user_sgpr_dispatch_ptr 0
		.amdhsa_user_sgpr_queue_ptr 0
		.amdhsa_user_sgpr_kernarg_segment_ptr 1
		.amdhsa_user_sgpr_dispatch_id 0
		.amdhsa_user_sgpr_flat_scratch_init 0
		.amdhsa_user_sgpr_private_segment_size 0
		.amdhsa_uses_dynamic_stack 0
		.amdhsa_system_sgpr_private_segment_wavefront_offset 0
		.amdhsa_system_sgpr_workgroup_id_x 1
		.amdhsa_system_sgpr_workgroup_id_y 0
		.amdhsa_system_sgpr_workgroup_id_z 0
		.amdhsa_system_sgpr_workgroup_info 0
		.amdhsa_system_vgpr_workitem_id 0
		.amdhsa_next_free_vgpr 10
		.amdhsa_next_free_sgpr 14
		.amdhsa_reserve_vcc 1
		.amdhsa_reserve_flat_scratch 0
		.amdhsa_float_round_mode_32 0
		.amdhsa_float_round_mode_16_64 0
		.amdhsa_float_denorm_mode_32 3
		.amdhsa_float_denorm_mode_16_64 3
		.amdhsa_dx10_clamp 1
		.amdhsa_ieee_mode 1
		.amdhsa_fp16_overflow 0
		.amdhsa_exception_fp_ieee_invalid_op 0
		.amdhsa_exception_fp_denorm_src 0
		.amdhsa_exception_fp_ieee_div_zero 0
		.amdhsa_exception_fp_ieee_overflow 0
		.amdhsa_exception_fp_ieee_underflow 0
		.amdhsa_exception_fp_ieee_inexact 0
		.amdhsa_exception_int_div_zero 0
	.end_amdhsa_kernel
	.section	.text._ZN9rocsparseL19nnz_compress_kernelILi1024ELi64ELi16EdEEvi21rocsparse_index_base_PKT2_PKiPiS2_,"axG",@progbits,_ZN9rocsparseL19nnz_compress_kernelILi1024ELi64ELi16EdEEvi21rocsparse_index_base_PKT2_PKiPiS2_,comdat
.Lfunc_end9:
	.size	_ZN9rocsparseL19nnz_compress_kernelILi1024ELi64ELi16EdEEvi21rocsparse_index_base_PKT2_PKiPiS2_, .Lfunc_end9-_ZN9rocsparseL19nnz_compress_kernelILi1024ELi64ELi16EdEEvi21rocsparse_index_base_PKT2_PKiPiS2_
                                        ; -- End function
	.set _ZN9rocsparseL19nnz_compress_kernelILi1024ELi64ELi16EdEEvi21rocsparse_index_base_PKT2_PKiPiS2_.num_vgpr, 10
	.set _ZN9rocsparseL19nnz_compress_kernelILi1024ELi64ELi16EdEEvi21rocsparse_index_base_PKT2_PKiPiS2_.num_agpr, 0
	.set _ZN9rocsparseL19nnz_compress_kernelILi1024ELi64ELi16EdEEvi21rocsparse_index_base_PKT2_PKiPiS2_.numbered_sgpr, 14
	.set _ZN9rocsparseL19nnz_compress_kernelILi1024ELi64ELi16EdEEvi21rocsparse_index_base_PKT2_PKiPiS2_.num_named_barrier, 0
	.set _ZN9rocsparseL19nnz_compress_kernelILi1024ELi64ELi16EdEEvi21rocsparse_index_base_PKT2_PKiPiS2_.private_seg_size, 0
	.set _ZN9rocsparseL19nnz_compress_kernelILi1024ELi64ELi16EdEEvi21rocsparse_index_base_PKT2_PKiPiS2_.uses_vcc, 1
	.set _ZN9rocsparseL19nnz_compress_kernelILi1024ELi64ELi16EdEEvi21rocsparse_index_base_PKT2_PKiPiS2_.uses_flat_scratch, 0
	.set _ZN9rocsparseL19nnz_compress_kernelILi1024ELi64ELi16EdEEvi21rocsparse_index_base_PKT2_PKiPiS2_.has_dyn_sized_stack, 0
	.set _ZN9rocsparseL19nnz_compress_kernelILi1024ELi64ELi16EdEEvi21rocsparse_index_base_PKT2_PKiPiS2_.has_recursion, 0
	.set _ZN9rocsparseL19nnz_compress_kernelILi1024ELi64ELi16EdEEvi21rocsparse_index_base_PKT2_PKiPiS2_.has_indirect_call, 0
	.section	.AMDGPU.csdata,"",@progbits
; Kernel info:
; codeLenInByte = 396
; TotalNumSgprs: 18
; NumVgprs: 10
; ScratchSize: 0
; MemoryBound: 0
; FloatMode: 240
; IeeeMode: 1
; LDSByteSize: 0 bytes/workgroup (compile time only)
; SGPRBlocks: 2
; VGPRBlocks: 2
; NumSGPRsForWavesPerEU: 18
; NumVGPRsForWavesPerEU: 10
; Occupancy: 10
; WaveLimiterHint : 0
; COMPUTE_PGM_RSRC2:SCRATCH_EN: 0
; COMPUTE_PGM_RSRC2:USER_SGPR: 6
; COMPUTE_PGM_RSRC2:TRAP_HANDLER: 0
; COMPUTE_PGM_RSRC2:TGID_X_EN: 1
; COMPUTE_PGM_RSRC2:TGID_Y_EN: 0
; COMPUTE_PGM_RSRC2:TGID_Z_EN: 0
; COMPUTE_PGM_RSRC2:TIDIG_COMP_CNT: 0
	.section	.text._ZN9rocsparseL19nnz_compress_kernelILi1024ELi32ELi32EdEEvi21rocsparse_index_base_PKT2_PKiPiS2_,"axG",@progbits,_ZN9rocsparseL19nnz_compress_kernelILi1024ELi32ELi32EdEEvi21rocsparse_index_base_PKT2_PKiPiS2_,comdat
	.globl	_ZN9rocsparseL19nnz_compress_kernelILi1024ELi32ELi32EdEEvi21rocsparse_index_base_PKT2_PKiPiS2_ ; -- Begin function _ZN9rocsparseL19nnz_compress_kernelILi1024ELi32ELi32EdEEvi21rocsparse_index_base_PKT2_PKiPiS2_
	.p2align	8
	.type	_ZN9rocsparseL19nnz_compress_kernelILi1024ELi32ELi32EdEEvi21rocsparse_index_base_PKT2_PKiPiS2_,@function
_ZN9rocsparseL19nnz_compress_kernelILi1024ELi32ELi32EdEEvi21rocsparse_index_base_PKT2_PKiPiS2_: ; @_ZN9rocsparseL19nnz_compress_kernelILi1024ELi32ELi32EdEEvi21rocsparse_index_base_PKT2_PKiPiS2_
; %bb.0:
	s_load_dwordx2 s[0:1], s[4:5], 0x0
	v_lshrrev_b32_e32 v1, 5, v0
	v_lshl_or_b32 v1, s6, 5, v1
	s_waitcnt lgkmcnt(0)
	v_cmp_gt_i32_e32 vcc, s0, v1
	s_and_saveexec_b64 s[2:3], vcc
	s_cbranch_execz .LBB10_6
; %bb.1:
	s_load_dwordx4 s[8:11], s[4:5], 0x10
	v_ashrrev_i32_e32 v2, 31, v1
	v_lshlrev_b64 v[1:2], 2, v[1:2]
	v_and_b32_e32 v0, 31, v0
	v_subrev_u32_e32 v5, s1, v0
	s_waitcnt lgkmcnt(0)
	v_mov_b32_e32 v4, s9
	v_add_co_u32_e32 v3, vcc, s8, v1
	v_addc_co_u32_e32 v4, vcc, v4, v2, vcc
	global_load_dwordx2 v[3:4], v[3:4], off
	v_mov_b32_e32 v6, 0
	s_waitcnt vmcnt(0)
	v_subrev_u32_e32 v0, s1, v4
	v_add_u32_e32 v3, v3, v5
	v_cmp_lt_i32_e32 vcc, v3, v0
	s_and_saveexec_b64 s[6:7], vcc
	s_cbranch_execz .LBB10_5
; %bb.2:
	s_load_dwordx2 s[0:1], s[4:5], 0x8
	s_load_dwordx2 s[8:9], s[4:5], 0x20
	v_ashrrev_i32_e32 v4, 31, v3
	v_lshlrev_b64 v[4:5], 3, v[3:4]
	s_mov_b32 s12, 0
	s_waitcnt lgkmcnt(0)
	v_mov_b32_e32 v6, s1
	v_add_co_u32_e32 v4, vcc, s0, v4
	v_addc_co_u32_e32 v5, vcc, v6, v5, vcc
	v_mov_b32_e32 v6, 0
	s_mov_b32 s13, 0x38100000
	s_mov_b64 s[4:5], 0
.LBB10_3:                               ; =>This Inner Loop Header: Depth=1
	global_load_dwordx2 v[7:8], v[4:5], off
	v_add_u32_e32 v3, 32, v3
	s_waitcnt vmcnt(0)
	v_cmp_gt_f64_e32 vcc, 0, v[7:8]
	v_xor_b32_e32 v9, 0x80000000, v8
	v_cndmask_b32_e32 v8, v8, v9, vcc
	v_cmp_lt_f64_e64 s[0:1], s[8:9], v[7:8]
	v_cmp_lt_f64_e64 s[2:3], s[12:13], v[7:8]
	v_add_co_u32_e32 v4, vcc, 0x100, v4
	v_addc_co_u32_e32 v5, vcc, 0, v5, vcc
	v_cmp_ge_i32_e32 vcc, v3, v0
	s_and_b64 s[0:1], s[0:1], s[2:3]
	s_or_b64 s[4:5], vcc, s[4:5]
	v_addc_co_u32_e64 v6, vcc, 0, v6, s[0:1]
	s_andn2_b64 exec, exec, s[4:5]
	s_cbranch_execnz .LBB10_3
; %bb.4:
	s_or_b64 exec, exec, s[4:5]
.LBB10_5:
	s_or_b64 exec, exec, s[6:7]
	v_mov_b32_dpp v0, v6 row_shr:1 row_mask:0xf bank_mask:0xf
	v_add_u32_e32 v0, v0, v6
	v_mov_b32_e32 v4, 0x7c
	s_nop 0
	v_mov_b32_dpp v3, v0 row_shr:2 row_mask:0xf bank_mask:0xf
	v_add_u32_e32 v0, v0, v3
	s_nop 1
	v_mov_b32_dpp v3, v0 row_shr:4 row_mask:0xf bank_mask:0xe
	v_add_u32_e32 v0, v0, v3
	;; [unrolled: 3-line block ×3, first 2 shown]
	s_nop 1
	v_mov_b32_dpp v3, v0 row_bcast:15 row_mask:0xa bank_mask:0xf
	v_add_u32_e32 v0, v0, v3
	v_mbcnt_lo_u32_b32 v3, -1, 0
	v_mbcnt_hi_u32_b32 v3, -1, v3
	v_lshl_or_b32 v3, v3, 2, v4
	ds_bpermute_b32 v3, v3, v0
	v_mov_b32_e32 v4, s11
	v_add_co_u32_e32 v0, vcc, s10, v1
	v_addc_co_u32_e32 v1, vcc, v4, v2, vcc
	s_waitcnt lgkmcnt(0)
	global_store_dword v[0:1], v3, off
.LBB10_6:
	s_endpgm
	.section	.rodata,"a",@progbits
	.p2align	6, 0x0
	.amdhsa_kernel _ZN9rocsparseL19nnz_compress_kernelILi1024ELi32ELi32EdEEvi21rocsparse_index_base_PKT2_PKiPiS2_
		.amdhsa_group_segment_fixed_size 0
		.amdhsa_private_segment_fixed_size 0
		.amdhsa_kernarg_size 40
		.amdhsa_user_sgpr_count 6
		.amdhsa_user_sgpr_private_segment_buffer 1
		.amdhsa_user_sgpr_dispatch_ptr 0
		.amdhsa_user_sgpr_queue_ptr 0
		.amdhsa_user_sgpr_kernarg_segment_ptr 1
		.amdhsa_user_sgpr_dispatch_id 0
		.amdhsa_user_sgpr_flat_scratch_init 0
		.amdhsa_user_sgpr_private_segment_size 0
		.amdhsa_uses_dynamic_stack 0
		.amdhsa_system_sgpr_private_segment_wavefront_offset 0
		.amdhsa_system_sgpr_workgroup_id_x 1
		.amdhsa_system_sgpr_workgroup_id_y 0
		.amdhsa_system_sgpr_workgroup_id_z 0
		.amdhsa_system_sgpr_workgroup_info 0
		.amdhsa_system_vgpr_workitem_id 0
		.amdhsa_next_free_vgpr 10
		.amdhsa_next_free_sgpr 14
		.amdhsa_reserve_vcc 1
		.amdhsa_reserve_flat_scratch 0
		.amdhsa_float_round_mode_32 0
		.amdhsa_float_round_mode_16_64 0
		.amdhsa_float_denorm_mode_32 3
		.amdhsa_float_denorm_mode_16_64 3
		.amdhsa_dx10_clamp 1
		.amdhsa_ieee_mode 1
		.amdhsa_fp16_overflow 0
		.amdhsa_exception_fp_ieee_invalid_op 0
		.amdhsa_exception_fp_denorm_src 0
		.amdhsa_exception_fp_ieee_div_zero 0
		.amdhsa_exception_fp_ieee_overflow 0
		.amdhsa_exception_fp_ieee_underflow 0
		.amdhsa_exception_fp_ieee_inexact 0
		.amdhsa_exception_int_div_zero 0
	.end_amdhsa_kernel
	.section	.text._ZN9rocsparseL19nnz_compress_kernelILi1024ELi32ELi32EdEEvi21rocsparse_index_base_PKT2_PKiPiS2_,"axG",@progbits,_ZN9rocsparseL19nnz_compress_kernelILi1024ELi32ELi32EdEEvi21rocsparse_index_base_PKT2_PKiPiS2_,comdat
.Lfunc_end10:
	.size	_ZN9rocsparseL19nnz_compress_kernelILi1024ELi32ELi32EdEEvi21rocsparse_index_base_PKT2_PKiPiS2_, .Lfunc_end10-_ZN9rocsparseL19nnz_compress_kernelILi1024ELi32ELi32EdEEvi21rocsparse_index_base_PKT2_PKiPiS2_
                                        ; -- End function
	.set _ZN9rocsparseL19nnz_compress_kernelILi1024ELi32ELi32EdEEvi21rocsparse_index_base_PKT2_PKiPiS2_.num_vgpr, 10
	.set _ZN9rocsparseL19nnz_compress_kernelILi1024ELi32ELi32EdEEvi21rocsparse_index_base_PKT2_PKiPiS2_.num_agpr, 0
	.set _ZN9rocsparseL19nnz_compress_kernelILi1024ELi32ELi32EdEEvi21rocsparse_index_base_PKT2_PKiPiS2_.numbered_sgpr, 14
	.set _ZN9rocsparseL19nnz_compress_kernelILi1024ELi32ELi32EdEEvi21rocsparse_index_base_PKT2_PKiPiS2_.num_named_barrier, 0
	.set _ZN9rocsparseL19nnz_compress_kernelILi1024ELi32ELi32EdEEvi21rocsparse_index_base_PKT2_PKiPiS2_.private_seg_size, 0
	.set _ZN9rocsparseL19nnz_compress_kernelILi1024ELi32ELi32EdEEvi21rocsparse_index_base_PKT2_PKiPiS2_.uses_vcc, 1
	.set _ZN9rocsparseL19nnz_compress_kernelILi1024ELi32ELi32EdEEvi21rocsparse_index_base_PKT2_PKiPiS2_.uses_flat_scratch, 0
	.set _ZN9rocsparseL19nnz_compress_kernelILi1024ELi32ELi32EdEEvi21rocsparse_index_base_PKT2_PKiPiS2_.has_dyn_sized_stack, 0
	.set _ZN9rocsparseL19nnz_compress_kernelILi1024ELi32ELi32EdEEvi21rocsparse_index_base_PKT2_PKiPiS2_.has_recursion, 0
	.set _ZN9rocsparseL19nnz_compress_kernelILi1024ELi32ELi32EdEEvi21rocsparse_index_base_PKT2_PKiPiS2_.has_indirect_call, 0
	.section	.AMDGPU.csdata,"",@progbits
; Kernel info:
; codeLenInByte = 420
; TotalNumSgprs: 18
; NumVgprs: 10
; ScratchSize: 0
; MemoryBound: 0
; FloatMode: 240
; IeeeMode: 1
; LDSByteSize: 0 bytes/workgroup (compile time only)
; SGPRBlocks: 2
; VGPRBlocks: 2
; NumSGPRsForWavesPerEU: 18
; NumVGPRsForWavesPerEU: 10
; Occupancy: 10
; WaveLimiterHint : 0
; COMPUTE_PGM_RSRC2:SCRATCH_EN: 0
; COMPUTE_PGM_RSRC2:USER_SGPR: 6
; COMPUTE_PGM_RSRC2:TRAP_HANDLER: 0
; COMPUTE_PGM_RSRC2:TGID_X_EN: 1
; COMPUTE_PGM_RSRC2:TGID_Y_EN: 0
; COMPUTE_PGM_RSRC2:TGID_Z_EN: 0
; COMPUTE_PGM_RSRC2:TIDIG_COMP_CNT: 0
	.section	.text._ZN9rocsparseL19nnz_compress_kernelILi1024ELi16ELi64EdEEvi21rocsparse_index_base_PKT2_PKiPiS2_,"axG",@progbits,_ZN9rocsparseL19nnz_compress_kernelILi1024ELi16ELi64EdEEvi21rocsparse_index_base_PKT2_PKiPiS2_,comdat
	.globl	_ZN9rocsparseL19nnz_compress_kernelILi1024ELi16ELi64EdEEvi21rocsparse_index_base_PKT2_PKiPiS2_ ; -- Begin function _ZN9rocsparseL19nnz_compress_kernelILi1024ELi16ELi64EdEEvi21rocsparse_index_base_PKT2_PKiPiS2_
	.p2align	8
	.type	_ZN9rocsparseL19nnz_compress_kernelILi1024ELi16ELi64EdEEvi21rocsparse_index_base_PKT2_PKiPiS2_,@function
_ZN9rocsparseL19nnz_compress_kernelILi1024ELi16ELi64EdEEvi21rocsparse_index_base_PKT2_PKiPiS2_: ; @_ZN9rocsparseL19nnz_compress_kernelILi1024ELi16ELi64EdEEvi21rocsparse_index_base_PKT2_PKiPiS2_
; %bb.0:
	s_load_dwordx2 s[0:1], s[4:5], 0x0
	v_lshrrev_b32_e32 v1, 6, v0
	v_lshl_or_b32 v1, s6, 4, v1
	s_waitcnt lgkmcnt(0)
	v_cmp_gt_i32_e32 vcc, s0, v1
	s_and_saveexec_b64 s[2:3], vcc
	s_cbranch_execz .LBB11_6
; %bb.1:
	s_load_dwordx4 s[8:11], s[4:5], 0x10
	v_ashrrev_i32_e32 v2, 31, v1
	v_lshlrev_b64 v[1:2], 2, v[1:2]
	v_and_b32_e32 v0, 63, v0
	v_subrev_u32_e32 v5, s1, v0
	s_waitcnt lgkmcnt(0)
	v_mov_b32_e32 v4, s9
	v_add_co_u32_e32 v3, vcc, s8, v1
	v_addc_co_u32_e32 v4, vcc, v4, v2, vcc
	global_load_dwordx2 v[3:4], v[3:4], off
	v_mov_b32_e32 v6, 0
	s_waitcnt vmcnt(0)
	v_subrev_u32_e32 v0, s1, v4
	v_add_u32_e32 v3, v3, v5
	v_cmp_lt_i32_e32 vcc, v3, v0
	s_and_saveexec_b64 s[6:7], vcc
	s_cbranch_execz .LBB11_5
; %bb.2:
	s_load_dwordx2 s[0:1], s[4:5], 0x8
	s_load_dwordx2 s[8:9], s[4:5], 0x20
	v_ashrrev_i32_e32 v4, 31, v3
	v_lshlrev_b64 v[4:5], 3, v[3:4]
	s_mov_b32 s12, 0
	s_waitcnt lgkmcnt(0)
	v_mov_b32_e32 v6, s1
	v_add_co_u32_e32 v4, vcc, s0, v4
	v_addc_co_u32_e32 v5, vcc, v6, v5, vcc
	v_mov_b32_e32 v6, 0
	s_mov_b32 s13, 0x38100000
	s_mov_b64 s[4:5], 0
.LBB11_3:                               ; =>This Inner Loop Header: Depth=1
	global_load_dwordx2 v[7:8], v[4:5], off
	v_add_u32_e32 v3, 64, v3
	s_waitcnt vmcnt(0)
	v_cmp_gt_f64_e32 vcc, 0, v[7:8]
	v_xor_b32_e32 v9, 0x80000000, v8
	v_cndmask_b32_e32 v8, v8, v9, vcc
	v_cmp_lt_f64_e64 s[0:1], s[8:9], v[7:8]
	v_cmp_lt_f64_e64 s[2:3], s[12:13], v[7:8]
	v_add_co_u32_e32 v4, vcc, 0x200, v4
	v_addc_co_u32_e32 v5, vcc, 0, v5, vcc
	v_cmp_ge_i32_e32 vcc, v3, v0
	s_and_b64 s[0:1], s[0:1], s[2:3]
	s_or_b64 s[4:5], vcc, s[4:5]
	v_addc_co_u32_e64 v6, vcc, 0, v6, s[0:1]
	s_andn2_b64 exec, exec, s[4:5]
	s_cbranch_execnz .LBB11_3
; %bb.4:
	s_or_b64 exec, exec, s[4:5]
.LBB11_5:
	s_or_b64 exec, exec, s[6:7]
	v_mov_b32_dpp v0, v6 row_shr:1 row_mask:0xf bank_mask:0xf
	v_add_u32_e32 v0, v0, v6
	v_bfrev_b32_e32 v4, 0.5
	s_nop 0
	v_mov_b32_dpp v3, v0 row_shr:2 row_mask:0xf bank_mask:0xf
	v_add_u32_e32 v0, v0, v3
	s_nop 1
	v_mov_b32_dpp v3, v0 row_shr:4 row_mask:0xf bank_mask:0xe
	v_add_u32_e32 v0, v0, v3
	;; [unrolled: 3-line block ×3, first 2 shown]
	s_nop 1
	v_mov_b32_dpp v3, v0 row_bcast:15 row_mask:0xa bank_mask:0xf
	v_add_u32_e32 v0, v0, v3
	s_nop 1
	v_mov_b32_dpp v3, v0 row_bcast:31 row_mask:0xc bank_mask:0xf
	v_add_u32_e32 v0, v0, v3
	v_mbcnt_lo_u32_b32 v3, -1, 0
	v_mbcnt_hi_u32_b32 v3, -1, v3
	v_lshl_or_b32 v3, v3, 2, v4
	ds_bpermute_b32 v3, v3, v0
	v_mov_b32_e32 v4, s11
	v_add_co_u32_e32 v0, vcc, s10, v1
	v_addc_co_u32_e32 v1, vcc, v4, v2, vcc
	s_waitcnt lgkmcnt(0)
	global_store_dword v[0:1], v3, off
.LBB11_6:
	s_endpgm
	.section	.rodata,"a",@progbits
	.p2align	6, 0x0
	.amdhsa_kernel _ZN9rocsparseL19nnz_compress_kernelILi1024ELi16ELi64EdEEvi21rocsparse_index_base_PKT2_PKiPiS2_
		.amdhsa_group_segment_fixed_size 0
		.amdhsa_private_segment_fixed_size 0
		.amdhsa_kernarg_size 40
		.amdhsa_user_sgpr_count 6
		.amdhsa_user_sgpr_private_segment_buffer 1
		.amdhsa_user_sgpr_dispatch_ptr 0
		.amdhsa_user_sgpr_queue_ptr 0
		.amdhsa_user_sgpr_kernarg_segment_ptr 1
		.amdhsa_user_sgpr_dispatch_id 0
		.amdhsa_user_sgpr_flat_scratch_init 0
		.amdhsa_user_sgpr_private_segment_size 0
		.amdhsa_uses_dynamic_stack 0
		.amdhsa_system_sgpr_private_segment_wavefront_offset 0
		.amdhsa_system_sgpr_workgroup_id_x 1
		.amdhsa_system_sgpr_workgroup_id_y 0
		.amdhsa_system_sgpr_workgroup_id_z 0
		.amdhsa_system_sgpr_workgroup_info 0
		.amdhsa_system_vgpr_workitem_id 0
		.amdhsa_next_free_vgpr 10
		.amdhsa_next_free_sgpr 14
		.amdhsa_reserve_vcc 1
		.amdhsa_reserve_flat_scratch 0
		.amdhsa_float_round_mode_32 0
		.amdhsa_float_round_mode_16_64 0
		.amdhsa_float_denorm_mode_32 3
		.amdhsa_float_denorm_mode_16_64 3
		.amdhsa_dx10_clamp 1
		.amdhsa_ieee_mode 1
		.amdhsa_fp16_overflow 0
		.amdhsa_exception_fp_ieee_invalid_op 0
		.amdhsa_exception_fp_denorm_src 0
		.amdhsa_exception_fp_ieee_div_zero 0
		.amdhsa_exception_fp_ieee_overflow 0
		.amdhsa_exception_fp_ieee_underflow 0
		.amdhsa_exception_fp_ieee_inexact 0
		.amdhsa_exception_int_div_zero 0
	.end_amdhsa_kernel
	.section	.text._ZN9rocsparseL19nnz_compress_kernelILi1024ELi16ELi64EdEEvi21rocsparse_index_base_PKT2_PKiPiS2_,"axG",@progbits,_ZN9rocsparseL19nnz_compress_kernelILi1024ELi16ELi64EdEEvi21rocsparse_index_base_PKT2_PKiPiS2_,comdat
.Lfunc_end11:
	.size	_ZN9rocsparseL19nnz_compress_kernelILi1024ELi16ELi64EdEEvi21rocsparse_index_base_PKT2_PKiPiS2_, .Lfunc_end11-_ZN9rocsparseL19nnz_compress_kernelILi1024ELi16ELi64EdEEvi21rocsparse_index_base_PKT2_PKiPiS2_
                                        ; -- End function
	.set _ZN9rocsparseL19nnz_compress_kernelILi1024ELi16ELi64EdEEvi21rocsparse_index_base_PKT2_PKiPiS2_.num_vgpr, 10
	.set _ZN9rocsparseL19nnz_compress_kernelILi1024ELi16ELi64EdEEvi21rocsparse_index_base_PKT2_PKiPiS2_.num_agpr, 0
	.set _ZN9rocsparseL19nnz_compress_kernelILi1024ELi16ELi64EdEEvi21rocsparse_index_base_PKT2_PKiPiS2_.numbered_sgpr, 14
	.set _ZN9rocsparseL19nnz_compress_kernelILi1024ELi16ELi64EdEEvi21rocsparse_index_base_PKT2_PKiPiS2_.num_named_barrier, 0
	.set _ZN9rocsparseL19nnz_compress_kernelILi1024ELi16ELi64EdEEvi21rocsparse_index_base_PKT2_PKiPiS2_.private_seg_size, 0
	.set _ZN9rocsparseL19nnz_compress_kernelILi1024ELi16ELi64EdEEvi21rocsparse_index_base_PKT2_PKiPiS2_.uses_vcc, 1
	.set _ZN9rocsparseL19nnz_compress_kernelILi1024ELi16ELi64EdEEvi21rocsparse_index_base_PKT2_PKiPiS2_.uses_flat_scratch, 0
	.set _ZN9rocsparseL19nnz_compress_kernelILi1024ELi16ELi64EdEEvi21rocsparse_index_base_PKT2_PKiPiS2_.has_dyn_sized_stack, 0
	.set _ZN9rocsparseL19nnz_compress_kernelILi1024ELi16ELi64EdEEvi21rocsparse_index_base_PKT2_PKiPiS2_.has_recursion, 0
	.set _ZN9rocsparseL19nnz_compress_kernelILi1024ELi16ELi64EdEEvi21rocsparse_index_base_PKT2_PKiPiS2_.has_indirect_call, 0
	.section	.AMDGPU.csdata,"",@progbits
; Kernel info:
; codeLenInByte = 432
; TotalNumSgprs: 18
; NumVgprs: 10
; ScratchSize: 0
; MemoryBound: 0
; FloatMode: 240
; IeeeMode: 1
; LDSByteSize: 0 bytes/workgroup (compile time only)
; SGPRBlocks: 2
; VGPRBlocks: 2
; NumSGPRsForWavesPerEU: 18
; NumVGPRsForWavesPerEU: 10
; Occupancy: 10
; WaveLimiterHint : 0
; COMPUTE_PGM_RSRC2:SCRATCH_EN: 0
; COMPUTE_PGM_RSRC2:USER_SGPR: 6
; COMPUTE_PGM_RSRC2:TRAP_HANDLER: 0
; COMPUTE_PGM_RSRC2:TGID_X_EN: 1
; COMPUTE_PGM_RSRC2:TGID_Y_EN: 0
; COMPUTE_PGM_RSRC2:TGID_Z_EN: 0
; COMPUTE_PGM_RSRC2:TIDIG_COMP_CNT: 0
	.section	.text._ZN9rocsparseL19nnz_compress_kernelILi1024ELi512ELi2E21rocsparse_complex_numIfEEEvi21rocsparse_index_base_PKT2_PKiPiS4_,"axG",@progbits,_ZN9rocsparseL19nnz_compress_kernelILi1024ELi512ELi2E21rocsparse_complex_numIfEEEvi21rocsparse_index_base_PKT2_PKiPiS4_,comdat
	.globl	_ZN9rocsparseL19nnz_compress_kernelILi1024ELi512ELi2E21rocsparse_complex_numIfEEEvi21rocsparse_index_base_PKT2_PKiPiS4_ ; -- Begin function _ZN9rocsparseL19nnz_compress_kernelILi1024ELi512ELi2E21rocsparse_complex_numIfEEEvi21rocsparse_index_base_PKT2_PKiPiS4_
	.p2align	8
	.type	_ZN9rocsparseL19nnz_compress_kernelILi1024ELi512ELi2E21rocsparse_complex_numIfEEEvi21rocsparse_index_base_PKT2_PKiPiS4_,@function
_ZN9rocsparseL19nnz_compress_kernelILi1024ELi512ELi2E21rocsparse_complex_numIfEEEvi21rocsparse_index_base_PKT2_PKiPiS4_: ; @_ZN9rocsparseL19nnz_compress_kernelILi1024ELi512ELi2E21rocsparse_complex_numIfEEEvi21rocsparse_index_base_PKT2_PKiPiS4_
; %bb.0:
	s_load_dwordx2 s[0:1], s[4:5], 0x0
	v_lshrrev_b32_e32 v1, 1, v0
	v_lshl_or_b32 v1, s6, 9, v1
	s_waitcnt lgkmcnt(0)
	v_cmp_gt_i32_e32 vcc, s0, v1
	s_and_saveexec_b64 s[2:3], vcc
	s_cbranch_execz .LBB12_22
; %bb.1:
	s_load_dwordx4 s[8:11], s[4:5], 0x10
	v_ashrrev_i32_e32 v2, 31, v1
	v_lshlrev_b64 v[1:2], 2, v[1:2]
	v_and_b32_e32 v0, 1, v0
	v_subrev_u32_e32 v5, s1, v0
	s_waitcnt lgkmcnt(0)
	v_mov_b32_e32 v4, s9
	v_add_co_u32_e32 v3, vcc, s8, v1
	v_addc_co_u32_e32 v4, vcc, v4, v2, vcc
	global_load_dwordx2 v[3:4], v[3:4], off
	v_mov_b32_e32 v8, 0
	s_waitcnt vmcnt(0)
	v_subrev_u32_e32 v0, s1, v4
	v_add_u32_e32 v3, v3, v5
	v_cmp_lt_i32_e32 vcc, v3, v0
	s_and_saveexec_b64 s[6:7], vcc
	s_cbranch_execz .LBB12_21
; %bb.2:
	s_load_dwordx2 s[0:1], s[4:5], 0x8
	s_load_dword s14, s[4:5], 0x20
	v_ashrrev_i32_e32 v4, 31, v3
	v_lshlrev_b64 v[4:5], 3, v[3:4]
	v_mov_b32_e32 v8, 0
	s_waitcnt lgkmcnt(0)
	v_mov_b32_e32 v6, s1
	v_add_co_u32_e32 v4, vcc, s0, v4
	v_addc_co_u32_e32 v5, vcc, v6, v5, vcc
	v_add_co_u32_e32 v4, vcc, 4, v4
	v_addc_co_u32_e32 v5, vcc, 0, v5, vcc
	s_mov_b64 s[4:5], 0
	s_mov_b32 s15, 0xf800000
	v_mov_b32_e32 v9, 0x260
	s_mov_b32 s16, 0x800000
	s_branch .LBB12_5
.LBB12_3:                               ;   in Loop: Header=BB12_5 Depth=1
	s_or_b64 exec, exec, s[0:1]
.LBB12_4:                               ;   in Loop: Header=BB12_5 Depth=1
	s_or_b64 exec, exec, s[2:3]
	v_add_u32_e32 v3, 2, v3
	v_cmp_ge_i32_e32 vcc, v3, v0
	s_or_b64 s[4:5], vcc, s[4:5]
	v_add_co_u32_e32 v4, vcc, 16, v4
	v_addc_co_u32_e32 v5, vcc, 0, v5, vcc
	s_andn2_b64 exec, exec, s[4:5]
	s_cbranch_execz .LBB12_20
.LBB12_5:                               ; =>This Inner Loop Header: Depth=1
	global_load_dwordx2 v[6:7], v[4:5], off offset:-4
                                        ; implicit-def: $vgpr11
	s_waitcnt vmcnt(0)
	v_cmp_gt_f32_e32 vcc, 0, v6
	v_cndmask_b32_e64 v6, v6, -v6, vcc
	v_cmp_gt_f32_e32 vcc, 0, v7
	v_cndmask_b32_e64 v10, v7, -v7, vcc
	v_cmp_ngt_f32_e64 s[0:1], v6, v10
	s_and_saveexec_b64 s[2:3], s[0:1]
	s_xor_b64 s[8:9], exec, s[2:3]
	s_cbranch_execnz .LBB12_8
; %bb.6:                                ;   in Loop: Header=BB12_5 Depth=1
	s_andn2_saveexec_b64 s[8:9], s[8:9]
	s_cbranch_execnz .LBB12_11
.LBB12_7:                               ;   in Loop: Header=BB12_5 Depth=1
	s_or_b64 exec, exec, s[8:9]
	v_cmp_lt_f32_e32 vcc, s14, v11
	s_and_saveexec_b64 s[2:3], vcc
	s_cbranch_execz .LBB12_4
	s_branch .LBB12_12
.LBB12_8:                               ;   in Loop: Header=BB12_5 Depth=1
	v_mov_b32_e32 v11, 0
	v_cmp_neq_f32_e32 vcc, 0, v7
	s_and_saveexec_b64 s[12:13], vcc
	s_cbranch_execz .LBB12_10
; %bb.9:                                ;   in Loop: Header=BB12_5 Depth=1
	v_div_scale_f32 v11, s[2:3], v10, v10, v6
	v_div_scale_f32 v12, vcc, v6, v10, v6
	v_rcp_f32_e32 v13, v11
	v_fma_f32 v14, -v11, v13, 1.0
	v_fmac_f32_e32 v13, v14, v13
	v_mul_f32_e32 v14, v12, v13
	v_fma_f32 v15, -v11, v14, v12
	v_fmac_f32_e32 v14, v15, v13
	v_fma_f32 v11, -v11, v14, v12
	v_div_fmas_f32 v11, v11, v13, v14
	v_div_fixup_f32 v11, v11, v10, v6
	v_fma_f32 v11, v11, v11, 1.0
	v_mul_f32_e32 v12, 0x4f800000, v11
	v_cmp_gt_f32_e32 vcc, s15, v11
	v_cndmask_b32_e32 v11, v11, v12, vcc
	v_sqrt_f32_e32 v12, v11
	v_add_u32_e32 v13, -1, v12
	v_add_u32_e32 v14, 1, v12
	v_fma_f32 v15, -v13, v12, v11
	v_fma_f32 v16, -v14, v12, v11
	v_cmp_ge_f32_e64 s[2:3], 0, v15
	v_cndmask_b32_e64 v12, v12, v13, s[2:3]
	v_cmp_lt_f32_e64 s[2:3], 0, v16
	v_cndmask_b32_e64 v12, v12, v14, s[2:3]
	v_mul_f32_e32 v13, 0x37800000, v12
	v_cndmask_b32_e32 v12, v12, v13, vcc
	v_cmp_class_f32_e32 vcc, v11, v9
	v_cndmask_b32_e32 v11, v12, v11, vcc
	v_mul_f32_e32 v11, v10, v11
.LBB12_10:                              ;   in Loop: Header=BB12_5 Depth=1
	s_or_b64 exec, exec, s[12:13]
	s_andn2_saveexec_b64 s[8:9], s[8:9]
	s_cbranch_execz .LBB12_7
.LBB12_11:                              ;   in Loop: Header=BB12_5 Depth=1
	v_div_scale_f32 v11, s[2:3], v6, v6, v10
	v_div_scale_f32 v12, vcc, v10, v6, v10
	v_rcp_f32_e32 v13, v11
	v_fma_f32 v14, -v11, v13, 1.0
	v_fmac_f32_e32 v13, v14, v13
	v_mul_f32_e32 v14, v12, v13
	v_fma_f32 v15, -v11, v14, v12
	v_fmac_f32_e32 v14, v15, v13
	v_fma_f32 v11, -v11, v14, v12
	v_div_fmas_f32 v11, v11, v13, v14
	v_div_fixup_f32 v11, v11, v6, v10
	v_fma_f32 v11, v11, v11, 1.0
	v_mul_f32_e32 v12, 0x4f800000, v11
	v_cmp_gt_f32_e32 vcc, s15, v11
	v_cndmask_b32_e32 v11, v11, v12, vcc
	v_sqrt_f32_e32 v12, v11
	v_add_u32_e32 v13, -1, v12
	v_add_u32_e32 v14, 1, v12
	v_fma_f32 v15, -v13, v12, v11
	v_fma_f32 v16, -v14, v12, v11
	v_cmp_ge_f32_e64 s[2:3], 0, v15
	v_cndmask_b32_e64 v12, v12, v13, s[2:3]
	v_cmp_lt_f32_e64 s[2:3], 0, v16
	v_cndmask_b32_e64 v12, v12, v14, s[2:3]
	v_mul_f32_e32 v13, 0x37800000, v12
	v_cndmask_b32_e32 v12, v12, v13, vcc
	v_cmp_class_f32_e32 vcc, v11, v9
	v_cndmask_b32_e32 v11, v12, v11, vcc
	v_mul_f32_e32 v11, v6, v11
	s_or_b64 exec, exec, s[8:9]
	v_cmp_lt_f32_e32 vcc, s14, v11
	s_and_saveexec_b64 s[2:3], vcc
	s_cbranch_execz .LBB12_4
.LBB12_12:                              ;   in Loop: Header=BB12_5 Depth=1
                                        ; implicit-def: $vgpr11
	s_and_saveexec_b64 s[8:9], s[0:1]
	s_xor_b64 s[8:9], exec, s[8:9]
	s_cbranch_execnz .LBB12_15
; %bb.13:                               ;   in Loop: Header=BB12_5 Depth=1
	s_andn2_saveexec_b64 s[8:9], s[8:9]
	s_cbranch_execnz .LBB12_18
.LBB12_14:                              ;   in Loop: Header=BB12_5 Depth=1
	s_or_b64 exec, exec, s[8:9]
	v_cmp_lt_f32_e32 vcc, s16, v11
	s_and_saveexec_b64 s[0:1], vcc
	s_cbranch_execz .LBB12_3
	s_branch .LBB12_19
.LBB12_15:                              ;   in Loop: Header=BB12_5 Depth=1
	v_mov_b32_e32 v11, 0
	v_cmp_neq_f32_e32 vcc, 0, v7
	s_and_saveexec_b64 s[12:13], vcc
	s_cbranch_execz .LBB12_17
; %bb.16:                               ;   in Loop: Header=BB12_5 Depth=1
	v_div_scale_f32 v7, s[0:1], v10, v10, v6
	v_div_scale_f32 v11, vcc, v6, v10, v6
	v_rcp_f32_e32 v12, v7
	v_fma_f32 v13, -v7, v12, 1.0
	v_fmac_f32_e32 v12, v13, v12
	v_mul_f32_e32 v13, v11, v12
	v_fma_f32 v14, -v7, v13, v11
	v_fmac_f32_e32 v13, v14, v12
	v_fma_f32 v7, -v7, v13, v11
	v_div_fmas_f32 v7, v7, v12, v13
	v_div_fixup_f32 v6, v7, v10, v6
	v_fma_f32 v6, v6, v6, 1.0
	v_mul_f32_e32 v7, 0x4f800000, v6
	v_cmp_gt_f32_e32 vcc, s15, v6
	v_cndmask_b32_e32 v6, v6, v7, vcc
	v_sqrt_f32_e32 v7, v6
	v_add_u32_e32 v11, -1, v7
	v_add_u32_e32 v12, 1, v7
	v_fma_f32 v13, -v11, v7, v6
	v_fma_f32 v14, -v12, v7, v6
	v_cmp_ge_f32_e64 s[0:1], 0, v13
	v_cndmask_b32_e64 v7, v7, v11, s[0:1]
	v_cmp_lt_f32_e64 s[0:1], 0, v14
	v_cndmask_b32_e64 v7, v7, v12, s[0:1]
	v_mul_f32_e32 v11, 0x37800000, v7
	v_cndmask_b32_e32 v7, v7, v11, vcc
	v_cmp_class_f32_e32 vcc, v6, v9
	v_cndmask_b32_e32 v6, v7, v6, vcc
	v_mul_f32_e32 v11, v10, v6
.LBB12_17:                              ;   in Loop: Header=BB12_5 Depth=1
	s_or_b64 exec, exec, s[12:13]
                                        ; implicit-def: $vgpr6
                                        ; implicit-def: $vgpr10
	s_andn2_saveexec_b64 s[8:9], s[8:9]
	s_cbranch_execz .LBB12_14
.LBB12_18:                              ;   in Loop: Header=BB12_5 Depth=1
	v_div_scale_f32 v7, s[0:1], v6, v6, v10
	v_div_scale_f32 v11, vcc, v10, v6, v10
	v_rcp_f32_e32 v12, v7
	v_fma_f32 v13, -v7, v12, 1.0
	v_fmac_f32_e32 v12, v13, v12
	v_mul_f32_e32 v13, v11, v12
	v_fma_f32 v14, -v7, v13, v11
	v_fmac_f32_e32 v13, v14, v12
	v_fma_f32 v7, -v7, v13, v11
	v_div_fmas_f32 v7, v7, v12, v13
	v_div_fixup_f32 v7, v7, v6, v10
	v_fma_f32 v7, v7, v7, 1.0
	v_mul_f32_e32 v10, 0x4f800000, v7
	v_cmp_gt_f32_e32 vcc, s15, v7
	v_cndmask_b32_e32 v7, v7, v10, vcc
	v_sqrt_f32_e32 v10, v7
	v_add_u32_e32 v11, -1, v10
	v_add_u32_e32 v12, 1, v10
	v_fma_f32 v13, -v11, v10, v7
	v_fma_f32 v14, -v12, v10, v7
	v_cmp_ge_f32_e64 s[0:1], 0, v13
	v_cndmask_b32_e64 v10, v10, v11, s[0:1]
	v_cmp_lt_f32_e64 s[0:1], 0, v14
	v_cndmask_b32_e64 v10, v10, v12, s[0:1]
	v_mul_f32_e32 v11, 0x37800000, v10
	v_cndmask_b32_e32 v10, v10, v11, vcc
	v_cmp_class_f32_e32 vcc, v7, v9
	v_cndmask_b32_e32 v7, v10, v7, vcc
	v_mul_f32_e32 v11, v6, v7
	s_or_b64 exec, exec, s[8:9]
	v_cmp_lt_f32_e32 vcc, s16, v11
	s_and_saveexec_b64 s[0:1], vcc
	s_cbranch_execz .LBB12_3
.LBB12_19:                              ;   in Loop: Header=BB12_5 Depth=1
	v_add_u32_e32 v8, 1, v8
	s_branch .LBB12_3
.LBB12_20:
	s_or_b64 exec, exec, s[4:5]
.LBB12_21:
	s_or_b64 exec, exec, s[6:7]
	v_mbcnt_lo_u32_b32 v3, -1, 0
	v_mov_b32_dpp v0, v8 row_shr:1 row_mask:0xf bank_mask:0xf
	v_mbcnt_hi_u32_b32 v3, -1, v3
	v_add_u32_e32 v0, v0, v8
	v_lshl_or_b32 v3, v3, 2, 4
	ds_bpermute_b32 v3, v3, v0
	v_mov_b32_e32 v4, s11
	v_add_co_u32_e32 v0, vcc, s10, v1
	v_addc_co_u32_e32 v1, vcc, v4, v2, vcc
	s_waitcnt lgkmcnt(0)
	global_store_dword v[0:1], v3, off
.LBB12_22:
	s_endpgm
	.section	.rodata,"a",@progbits
	.p2align	6, 0x0
	.amdhsa_kernel _ZN9rocsparseL19nnz_compress_kernelILi1024ELi512ELi2E21rocsparse_complex_numIfEEEvi21rocsparse_index_base_PKT2_PKiPiS4_
		.amdhsa_group_segment_fixed_size 0
		.amdhsa_private_segment_fixed_size 0
		.amdhsa_kernarg_size 40
		.amdhsa_user_sgpr_count 6
		.amdhsa_user_sgpr_private_segment_buffer 1
		.amdhsa_user_sgpr_dispatch_ptr 0
		.amdhsa_user_sgpr_queue_ptr 0
		.amdhsa_user_sgpr_kernarg_segment_ptr 1
		.amdhsa_user_sgpr_dispatch_id 0
		.amdhsa_user_sgpr_flat_scratch_init 0
		.amdhsa_user_sgpr_private_segment_size 0
		.amdhsa_uses_dynamic_stack 0
		.amdhsa_system_sgpr_private_segment_wavefront_offset 0
		.amdhsa_system_sgpr_workgroup_id_x 1
		.amdhsa_system_sgpr_workgroup_id_y 0
		.amdhsa_system_sgpr_workgroup_id_z 0
		.amdhsa_system_sgpr_workgroup_info 0
		.amdhsa_system_vgpr_workitem_id 0
		.amdhsa_next_free_vgpr 17
		.amdhsa_next_free_sgpr 17
		.amdhsa_reserve_vcc 1
		.amdhsa_reserve_flat_scratch 0
		.amdhsa_float_round_mode_32 0
		.amdhsa_float_round_mode_16_64 0
		.amdhsa_float_denorm_mode_32 3
		.amdhsa_float_denorm_mode_16_64 3
		.amdhsa_dx10_clamp 1
		.amdhsa_ieee_mode 1
		.amdhsa_fp16_overflow 0
		.amdhsa_exception_fp_ieee_invalid_op 0
		.amdhsa_exception_fp_denorm_src 0
		.amdhsa_exception_fp_ieee_div_zero 0
		.amdhsa_exception_fp_ieee_overflow 0
		.amdhsa_exception_fp_ieee_underflow 0
		.amdhsa_exception_fp_ieee_inexact 0
		.amdhsa_exception_int_div_zero 0
	.end_amdhsa_kernel
	.section	.text._ZN9rocsparseL19nnz_compress_kernelILi1024ELi512ELi2E21rocsparse_complex_numIfEEEvi21rocsparse_index_base_PKT2_PKiPiS4_,"axG",@progbits,_ZN9rocsparseL19nnz_compress_kernelILi1024ELi512ELi2E21rocsparse_complex_numIfEEEvi21rocsparse_index_base_PKT2_PKiPiS4_,comdat
.Lfunc_end12:
	.size	_ZN9rocsparseL19nnz_compress_kernelILi1024ELi512ELi2E21rocsparse_complex_numIfEEEvi21rocsparse_index_base_PKT2_PKiPiS4_, .Lfunc_end12-_ZN9rocsparseL19nnz_compress_kernelILi1024ELi512ELi2E21rocsparse_complex_numIfEEEvi21rocsparse_index_base_PKT2_PKiPiS4_
                                        ; -- End function
	.set _ZN9rocsparseL19nnz_compress_kernelILi1024ELi512ELi2E21rocsparse_complex_numIfEEEvi21rocsparse_index_base_PKT2_PKiPiS4_.num_vgpr, 17
	.set _ZN9rocsparseL19nnz_compress_kernelILi1024ELi512ELi2E21rocsparse_complex_numIfEEEvi21rocsparse_index_base_PKT2_PKiPiS4_.num_agpr, 0
	.set _ZN9rocsparseL19nnz_compress_kernelILi1024ELi512ELi2E21rocsparse_complex_numIfEEEvi21rocsparse_index_base_PKT2_PKiPiS4_.numbered_sgpr, 17
	.set _ZN9rocsparseL19nnz_compress_kernelILi1024ELi512ELi2E21rocsparse_complex_numIfEEEvi21rocsparse_index_base_PKT2_PKiPiS4_.num_named_barrier, 0
	.set _ZN9rocsparseL19nnz_compress_kernelILi1024ELi512ELi2E21rocsparse_complex_numIfEEEvi21rocsparse_index_base_PKT2_PKiPiS4_.private_seg_size, 0
	.set _ZN9rocsparseL19nnz_compress_kernelILi1024ELi512ELi2E21rocsparse_complex_numIfEEEvi21rocsparse_index_base_PKT2_PKiPiS4_.uses_vcc, 1
	.set _ZN9rocsparseL19nnz_compress_kernelILi1024ELi512ELi2E21rocsparse_complex_numIfEEEvi21rocsparse_index_base_PKT2_PKiPiS4_.uses_flat_scratch, 0
	.set _ZN9rocsparseL19nnz_compress_kernelILi1024ELi512ELi2E21rocsparse_complex_numIfEEEvi21rocsparse_index_base_PKT2_PKiPiS4_.has_dyn_sized_stack, 0
	.set _ZN9rocsparseL19nnz_compress_kernelILi1024ELi512ELi2E21rocsparse_complex_numIfEEEvi21rocsparse_index_base_PKT2_PKiPiS4_.has_recursion, 0
	.set _ZN9rocsparseL19nnz_compress_kernelILi1024ELi512ELi2E21rocsparse_complex_numIfEEEvi21rocsparse_index_base_PKT2_PKiPiS4_.has_indirect_call, 0
	.section	.AMDGPU.csdata,"",@progbits
; Kernel info:
; codeLenInByte = 1260
; TotalNumSgprs: 21
; NumVgprs: 17
; ScratchSize: 0
; MemoryBound: 0
; FloatMode: 240
; IeeeMode: 1
; LDSByteSize: 0 bytes/workgroup (compile time only)
; SGPRBlocks: 2
; VGPRBlocks: 4
; NumSGPRsForWavesPerEU: 21
; NumVGPRsForWavesPerEU: 17
; Occupancy: 10
; WaveLimiterHint : 0
; COMPUTE_PGM_RSRC2:SCRATCH_EN: 0
; COMPUTE_PGM_RSRC2:USER_SGPR: 6
; COMPUTE_PGM_RSRC2:TRAP_HANDLER: 0
; COMPUTE_PGM_RSRC2:TGID_X_EN: 1
; COMPUTE_PGM_RSRC2:TGID_Y_EN: 0
; COMPUTE_PGM_RSRC2:TGID_Z_EN: 0
; COMPUTE_PGM_RSRC2:TIDIG_COMP_CNT: 0
	.section	.text._ZN9rocsparseL19nnz_compress_kernelILi1024ELi256ELi4E21rocsparse_complex_numIfEEEvi21rocsparse_index_base_PKT2_PKiPiS4_,"axG",@progbits,_ZN9rocsparseL19nnz_compress_kernelILi1024ELi256ELi4E21rocsparse_complex_numIfEEEvi21rocsparse_index_base_PKT2_PKiPiS4_,comdat
	.globl	_ZN9rocsparseL19nnz_compress_kernelILi1024ELi256ELi4E21rocsparse_complex_numIfEEEvi21rocsparse_index_base_PKT2_PKiPiS4_ ; -- Begin function _ZN9rocsparseL19nnz_compress_kernelILi1024ELi256ELi4E21rocsparse_complex_numIfEEEvi21rocsparse_index_base_PKT2_PKiPiS4_
	.p2align	8
	.type	_ZN9rocsparseL19nnz_compress_kernelILi1024ELi256ELi4E21rocsparse_complex_numIfEEEvi21rocsparse_index_base_PKT2_PKiPiS4_,@function
_ZN9rocsparseL19nnz_compress_kernelILi1024ELi256ELi4E21rocsparse_complex_numIfEEEvi21rocsparse_index_base_PKT2_PKiPiS4_: ; @_ZN9rocsparseL19nnz_compress_kernelILi1024ELi256ELi4E21rocsparse_complex_numIfEEEvi21rocsparse_index_base_PKT2_PKiPiS4_
; %bb.0:
	s_load_dwordx2 s[0:1], s[4:5], 0x0
	v_lshrrev_b32_e32 v1, 2, v0
	v_lshl_or_b32 v1, s6, 8, v1
	s_waitcnt lgkmcnt(0)
	v_cmp_gt_i32_e32 vcc, s0, v1
	s_and_saveexec_b64 s[2:3], vcc
	s_cbranch_execz .LBB13_22
; %bb.1:
	s_load_dwordx4 s[8:11], s[4:5], 0x10
	v_ashrrev_i32_e32 v2, 31, v1
	v_lshlrev_b64 v[1:2], 2, v[1:2]
	v_and_b32_e32 v0, 3, v0
	v_subrev_u32_e32 v5, s1, v0
	s_waitcnt lgkmcnt(0)
	v_mov_b32_e32 v4, s9
	v_add_co_u32_e32 v3, vcc, s8, v1
	v_addc_co_u32_e32 v4, vcc, v4, v2, vcc
	global_load_dwordx2 v[3:4], v[3:4], off
	v_mov_b32_e32 v8, 0
	s_waitcnt vmcnt(0)
	v_subrev_u32_e32 v0, s1, v4
	v_add_u32_e32 v3, v3, v5
	v_cmp_lt_i32_e32 vcc, v3, v0
	s_and_saveexec_b64 s[6:7], vcc
	s_cbranch_execz .LBB13_21
; %bb.2:
	s_load_dwordx2 s[0:1], s[4:5], 0x8
	s_load_dword s14, s[4:5], 0x20
	v_ashrrev_i32_e32 v4, 31, v3
	v_lshlrev_b64 v[4:5], 3, v[3:4]
	v_mov_b32_e32 v8, 0
	s_waitcnt lgkmcnt(0)
	v_mov_b32_e32 v6, s1
	v_add_co_u32_e32 v4, vcc, s0, v4
	v_addc_co_u32_e32 v5, vcc, v6, v5, vcc
	v_add_co_u32_e32 v4, vcc, 4, v4
	v_addc_co_u32_e32 v5, vcc, 0, v5, vcc
	s_mov_b64 s[4:5], 0
	s_mov_b32 s15, 0xf800000
	v_mov_b32_e32 v9, 0x260
	s_mov_b32 s16, 0x800000
	s_branch .LBB13_5
.LBB13_3:                               ;   in Loop: Header=BB13_5 Depth=1
	s_or_b64 exec, exec, s[0:1]
.LBB13_4:                               ;   in Loop: Header=BB13_5 Depth=1
	s_or_b64 exec, exec, s[2:3]
	v_add_u32_e32 v3, 4, v3
	v_cmp_ge_i32_e32 vcc, v3, v0
	s_or_b64 s[4:5], vcc, s[4:5]
	v_add_co_u32_e32 v4, vcc, 32, v4
	v_addc_co_u32_e32 v5, vcc, 0, v5, vcc
	s_andn2_b64 exec, exec, s[4:5]
	s_cbranch_execz .LBB13_20
.LBB13_5:                               ; =>This Inner Loop Header: Depth=1
	global_load_dwordx2 v[6:7], v[4:5], off offset:-4
                                        ; implicit-def: $vgpr11
	s_waitcnt vmcnt(0)
	v_cmp_gt_f32_e32 vcc, 0, v6
	v_cndmask_b32_e64 v6, v6, -v6, vcc
	v_cmp_gt_f32_e32 vcc, 0, v7
	v_cndmask_b32_e64 v10, v7, -v7, vcc
	v_cmp_ngt_f32_e64 s[0:1], v6, v10
	s_and_saveexec_b64 s[2:3], s[0:1]
	s_xor_b64 s[8:9], exec, s[2:3]
	s_cbranch_execnz .LBB13_8
; %bb.6:                                ;   in Loop: Header=BB13_5 Depth=1
	s_andn2_saveexec_b64 s[8:9], s[8:9]
	s_cbranch_execnz .LBB13_11
.LBB13_7:                               ;   in Loop: Header=BB13_5 Depth=1
	s_or_b64 exec, exec, s[8:9]
	v_cmp_lt_f32_e32 vcc, s14, v11
	s_and_saveexec_b64 s[2:3], vcc
	s_cbranch_execz .LBB13_4
	s_branch .LBB13_12
.LBB13_8:                               ;   in Loop: Header=BB13_5 Depth=1
	v_mov_b32_e32 v11, 0
	v_cmp_neq_f32_e32 vcc, 0, v7
	s_and_saveexec_b64 s[12:13], vcc
	s_cbranch_execz .LBB13_10
; %bb.9:                                ;   in Loop: Header=BB13_5 Depth=1
	v_div_scale_f32 v11, s[2:3], v10, v10, v6
	v_div_scale_f32 v12, vcc, v6, v10, v6
	v_rcp_f32_e32 v13, v11
	v_fma_f32 v14, -v11, v13, 1.0
	v_fmac_f32_e32 v13, v14, v13
	v_mul_f32_e32 v14, v12, v13
	v_fma_f32 v15, -v11, v14, v12
	v_fmac_f32_e32 v14, v15, v13
	v_fma_f32 v11, -v11, v14, v12
	v_div_fmas_f32 v11, v11, v13, v14
	v_div_fixup_f32 v11, v11, v10, v6
	v_fma_f32 v11, v11, v11, 1.0
	v_mul_f32_e32 v12, 0x4f800000, v11
	v_cmp_gt_f32_e32 vcc, s15, v11
	v_cndmask_b32_e32 v11, v11, v12, vcc
	v_sqrt_f32_e32 v12, v11
	v_add_u32_e32 v13, -1, v12
	v_add_u32_e32 v14, 1, v12
	v_fma_f32 v15, -v13, v12, v11
	v_fma_f32 v16, -v14, v12, v11
	v_cmp_ge_f32_e64 s[2:3], 0, v15
	v_cndmask_b32_e64 v12, v12, v13, s[2:3]
	v_cmp_lt_f32_e64 s[2:3], 0, v16
	v_cndmask_b32_e64 v12, v12, v14, s[2:3]
	v_mul_f32_e32 v13, 0x37800000, v12
	v_cndmask_b32_e32 v12, v12, v13, vcc
	v_cmp_class_f32_e32 vcc, v11, v9
	v_cndmask_b32_e32 v11, v12, v11, vcc
	v_mul_f32_e32 v11, v10, v11
.LBB13_10:                              ;   in Loop: Header=BB13_5 Depth=1
	s_or_b64 exec, exec, s[12:13]
	s_andn2_saveexec_b64 s[8:9], s[8:9]
	s_cbranch_execz .LBB13_7
.LBB13_11:                              ;   in Loop: Header=BB13_5 Depth=1
	v_div_scale_f32 v11, s[2:3], v6, v6, v10
	v_div_scale_f32 v12, vcc, v10, v6, v10
	v_rcp_f32_e32 v13, v11
	v_fma_f32 v14, -v11, v13, 1.0
	v_fmac_f32_e32 v13, v14, v13
	v_mul_f32_e32 v14, v12, v13
	v_fma_f32 v15, -v11, v14, v12
	v_fmac_f32_e32 v14, v15, v13
	v_fma_f32 v11, -v11, v14, v12
	v_div_fmas_f32 v11, v11, v13, v14
	v_div_fixup_f32 v11, v11, v6, v10
	v_fma_f32 v11, v11, v11, 1.0
	v_mul_f32_e32 v12, 0x4f800000, v11
	v_cmp_gt_f32_e32 vcc, s15, v11
	v_cndmask_b32_e32 v11, v11, v12, vcc
	v_sqrt_f32_e32 v12, v11
	v_add_u32_e32 v13, -1, v12
	v_add_u32_e32 v14, 1, v12
	v_fma_f32 v15, -v13, v12, v11
	v_fma_f32 v16, -v14, v12, v11
	v_cmp_ge_f32_e64 s[2:3], 0, v15
	v_cndmask_b32_e64 v12, v12, v13, s[2:3]
	v_cmp_lt_f32_e64 s[2:3], 0, v16
	v_cndmask_b32_e64 v12, v12, v14, s[2:3]
	v_mul_f32_e32 v13, 0x37800000, v12
	v_cndmask_b32_e32 v12, v12, v13, vcc
	v_cmp_class_f32_e32 vcc, v11, v9
	v_cndmask_b32_e32 v11, v12, v11, vcc
	v_mul_f32_e32 v11, v6, v11
	s_or_b64 exec, exec, s[8:9]
	v_cmp_lt_f32_e32 vcc, s14, v11
	s_and_saveexec_b64 s[2:3], vcc
	s_cbranch_execz .LBB13_4
.LBB13_12:                              ;   in Loop: Header=BB13_5 Depth=1
                                        ; implicit-def: $vgpr11
	s_and_saveexec_b64 s[8:9], s[0:1]
	s_xor_b64 s[8:9], exec, s[8:9]
	s_cbranch_execnz .LBB13_15
; %bb.13:                               ;   in Loop: Header=BB13_5 Depth=1
	s_andn2_saveexec_b64 s[8:9], s[8:9]
	s_cbranch_execnz .LBB13_18
.LBB13_14:                              ;   in Loop: Header=BB13_5 Depth=1
	s_or_b64 exec, exec, s[8:9]
	v_cmp_lt_f32_e32 vcc, s16, v11
	s_and_saveexec_b64 s[0:1], vcc
	s_cbranch_execz .LBB13_3
	s_branch .LBB13_19
.LBB13_15:                              ;   in Loop: Header=BB13_5 Depth=1
	v_mov_b32_e32 v11, 0
	v_cmp_neq_f32_e32 vcc, 0, v7
	s_and_saveexec_b64 s[12:13], vcc
	s_cbranch_execz .LBB13_17
; %bb.16:                               ;   in Loop: Header=BB13_5 Depth=1
	v_div_scale_f32 v7, s[0:1], v10, v10, v6
	v_div_scale_f32 v11, vcc, v6, v10, v6
	v_rcp_f32_e32 v12, v7
	v_fma_f32 v13, -v7, v12, 1.0
	v_fmac_f32_e32 v12, v13, v12
	v_mul_f32_e32 v13, v11, v12
	v_fma_f32 v14, -v7, v13, v11
	v_fmac_f32_e32 v13, v14, v12
	v_fma_f32 v7, -v7, v13, v11
	v_div_fmas_f32 v7, v7, v12, v13
	v_div_fixup_f32 v6, v7, v10, v6
	v_fma_f32 v6, v6, v6, 1.0
	v_mul_f32_e32 v7, 0x4f800000, v6
	v_cmp_gt_f32_e32 vcc, s15, v6
	v_cndmask_b32_e32 v6, v6, v7, vcc
	v_sqrt_f32_e32 v7, v6
	v_add_u32_e32 v11, -1, v7
	v_add_u32_e32 v12, 1, v7
	v_fma_f32 v13, -v11, v7, v6
	v_fma_f32 v14, -v12, v7, v6
	v_cmp_ge_f32_e64 s[0:1], 0, v13
	v_cndmask_b32_e64 v7, v7, v11, s[0:1]
	v_cmp_lt_f32_e64 s[0:1], 0, v14
	v_cndmask_b32_e64 v7, v7, v12, s[0:1]
	v_mul_f32_e32 v11, 0x37800000, v7
	v_cndmask_b32_e32 v7, v7, v11, vcc
	v_cmp_class_f32_e32 vcc, v6, v9
	v_cndmask_b32_e32 v6, v7, v6, vcc
	v_mul_f32_e32 v11, v10, v6
.LBB13_17:                              ;   in Loop: Header=BB13_5 Depth=1
	s_or_b64 exec, exec, s[12:13]
                                        ; implicit-def: $vgpr6
                                        ; implicit-def: $vgpr10
	s_andn2_saveexec_b64 s[8:9], s[8:9]
	s_cbranch_execz .LBB13_14
.LBB13_18:                              ;   in Loop: Header=BB13_5 Depth=1
	v_div_scale_f32 v7, s[0:1], v6, v6, v10
	v_div_scale_f32 v11, vcc, v10, v6, v10
	v_rcp_f32_e32 v12, v7
	v_fma_f32 v13, -v7, v12, 1.0
	v_fmac_f32_e32 v12, v13, v12
	v_mul_f32_e32 v13, v11, v12
	v_fma_f32 v14, -v7, v13, v11
	v_fmac_f32_e32 v13, v14, v12
	v_fma_f32 v7, -v7, v13, v11
	v_div_fmas_f32 v7, v7, v12, v13
	v_div_fixup_f32 v7, v7, v6, v10
	v_fma_f32 v7, v7, v7, 1.0
	v_mul_f32_e32 v10, 0x4f800000, v7
	v_cmp_gt_f32_e32 vcc, s15, v7
	v_cndmask_b32_e32 v7, v7, v10, vcc
	v_sqrt_f32_e32 v10, v7
	v_add_u32_e32 v11, -1, v10
	v_add_u32_e32 v12, 1, v10
	v_fma_f32 v13, -v11, v10, v7
	v_fma_f32 v14, -v12, v10, v7
	v_cmp_ge_f32_e64 s[0:1], 0, v13
	v_cndmask_b32_e64 v10, v10, v11, s[0:1]
	v_cmp_lt_f32_e64 s[0:1], 0, v14
	v_cndmask_b32_e64 v10, v10, v12, s[0:1]
	v_mul_f32_e32 v11, 0x37800000, v10
	v_cndmask_b32_e32 v10, v10, v11, vcc
	v_cmp_class_f32_e32 vcc, v7, v9
	v_cndmask_b32_e32 v7, v10, v7, vcc
	v_mul_f32_e32 v11, v6, v7
	s_or_b64 exec, exec, s[8:9]
	v_cmp_lt_f32_e32 vcc, s16, v11
	s_and_saveexec_b64 s[0:1], vcc
	s_cbranch_execz .LBB13_3
.LBB13_19:                              ;   in Loop: Header=BB13_5 Depth=1
	v_add_u32_e32 v8, 1, v8
	s_branch .LBB13_3
.LBB13_20:
	s_or_b64 exec, exec, s[4:5]
.LBB13_21:
	s_or_b64 exec, exec, s[6:7]
	v_mov_b32_dpp v0, v8 row_shr:1 row_mask:0xf bank_mask:0xf
	v_add_u32_e32 v0, v0, v8
	v_mov_b32_e32 v4, s11
	s_nop 0
	v_mov_b32_dpp v3, v0 row_shr:2 row_mask:0xf bank_mask:0xf
	v_add_u32_e32 v0, v0, v3
	v_mbcnt_lo_u32_b32 v3, -1, 0
	v_mbcnt_hi_u32_b32 v3, -1, v3
	v_lshl_or_b32 v3, v3, 2, 12
	ds_bpermute_b32 v3, v3, v0
	v_add_co_u32_e32 v0, vcc, s10, v1
	v_addc_co_u32_e32 v1, vcc, v4, v2, vcc
	s_waitcnt lgkmcnt(0)
	global_store_dword v[0:1], v3, off
.LBB13_22:
	s_endpgm
	.section	.rodata,"a",@progbits
	.p2align	6, 0x0
	.amdhsa_kernel _ZN9rocsparseL19nnz_compress_kernelILi1024ELi256ELi4E21rocsparse_complex_numIfEEEvi21rocsparse_index_base_PKT2_PKiPiS4_
		.amdhsa_group_segment_fixed_size 0
		.amdhsa_private_segment_fixed_size 0
		.amdhsa_kernarg_size 40
		.amdhsa_user_sgpr_count 6
		.amdhsa_user_sgpr_private_segment_buffer 1
		.amdhsa_user_sgpr_dispatch_ptr 0
		.amdhsa_user_sgpr_queue_ptr 0
		.amdhsa_user_sgpr_kernarg_segment_ptr 1
		.amdhsa_user_sgpr_dispatch_id 0
		.amdhsa_user_sgpr_flat_scratch_init 0
		.amdhsa_user_sgpr_private_segment_size 0
		.amdhsa_uses_dynamic_stack 0
		.amdhsa_system_sgpr_private_segment_wavefront_offset 0
		.amdhsa_system_sgpr_workgroup_id_x 1
		.amdhsa_system_sgpr_workgroup_id_y 0
		.amdhsa_system_sgpr_workgroup_id_z 0
		.amdhsa_system_sgpr_workgroup_info 0
		.amdhsa_system_vgpr_workitem_id 0
		.amdhsa_next_free_vgpr 17
		.amdhsa_next_free_sgpr 17
		.amdhsa_reserve_vcc 1
		.amdhsa_reserve_flat_scratch 0
		.amdhsa_float_round_mode_32 0
		.amdhsa_float_round_mode_16_64 0
		.amdhsa_float_denorm_mode_32 3
		.amdhsa_float_denorm_mode_16_64 3
		.amdhsa_dx10_clamp 1
		.amdhsa_ieee_mode 1
		.amdhsa_fp16_overflow 0
		.amdhsa_exception_fp_ieee_invalid_op 0
		.amdhsa_exception_fp_denorm_src 0
		.amdhsa_exception_fp_ieee_div_zero 0
		.amdhsa_exception_fp_ieee_overflow 0
		.amdhsa_exception_fp_ieee_underflow 0
		.amdhsa_exception_fp_ieee_inexact 0
		.amdhsa_exception_int_div_zero 0
	.end_amdhsa_kernel
	.section	.text._ZN9rocsparseL19nnz_compress_kernelILi1024ELi256ELi4E21rocsparse_complex_numIfEEEvi21rocsparse_index_base_PKT2_PKiPiS4_,"axG",@progbits,_ZN9rocsparseL19nnz_compress_kernelILi1024ELi256ELi4E21rocsparse_complex_numIfEEEvi21rocsparse_index_base_PKT2_PKiPiS4_,comdat
.Lfunc_end13:
	.size	_ZN9rocsparseL19nnz_compress_kernelILi1024ELi256ELi4E21rocsparse_complex_numIfEEEvi21rocsparse_index_base_PKT2_PKiPiS4_, .Lfunc_end13-_ZN9rocsparseL19nnz_compress_kernelILi1024ELi256ELi4E21rocsparse_complex_numIfEEEvi21rocsparse_index_base_PKT2_PKiPiS4_
                                        ; -- End function
	.set _ZN9rocsparseL19nnz_compress_kernelILi1024ELi256ELi4E21rocsparse_complex_numIfEEEvi21rocsparse_index_base_PKT2_PKiPiS4_.num_vgpr, 17
	.set _ZN9rocsparseL19nnz_compress_kernelILi1024ELi256ELi4E21rocsparse_complex_numIfEEEvi21rocsparse_index_base_PKT2_PKiPiS4_.num_agpr, 0
	.set _ZN9rocsparseL19nnz_compress_kernelILi1024ELi256ELi4E21rocsparse_complex_numIfEEEvi21rocsparse_index_base_PKT2_PKiPiS4_.numbered_sgpr, 17
	.set _ZN9rocsparseL19nnz_compress_kernelILi1024ELi256ELi4E21rocsparse_complex_numIfEEEvi21rocsparse_index_base_PKT2_PKiPiS4_.num_named_barrier, 0
	.set _ZN9rocsparseL19nnz_compress_kernelILi1024ELi256ELi4E21rocsparse_complex_numIfEEEvi21rocsparse_index_base_PKT2_PKiPiS4_.private_seg_size, 0
	.set _ZN9rocsparseL19nnz_compress_kernelILi1024ELi256ELi4E21rocsparse_complex_numIfEEEvi21rocsparse_index_base_PKT2_PKiPiS4_.uses_vcc, 1
	.set _ZN9rocsparseL19nnz_compress_kernelILi1024ELi256ELi4E21rocsparse_complex_numIfEEEvi21rocsparse_index_base_PKT2_PKiPiS4_.uses_flat_scratch, 0
	.set _ZN9rocsparseL19nnz_compress_kernelILi1024ELi256ELi4E21rocsparse_complex_numIfEEEvi21rocsparse_index_base_PKT2_PKiPiS4_.has_dyn_sized_stack, 0
	.set _ZN9rocsparseL19nnz_compress_kernelILi1024ELi256ELi4E21rocsparse_complex_numIfEEEvi21rocsparse_index_base_PKT2_PKiPiS4_.has_recursion, 0
	.set _ZN9rocsparseL19nnz_compress_kernelILi1024ELi256ELi4E21rocsparse_complex_numIfEEEvi21rocsparse_index_base_PKT2_PKiPiS4_.has_indirect_call, 0
	.section	.AMDGPU.csdata,"",@progbits
; Kernel info:
; codeLenInByte = 1276
; TotalNumSgprs: 21
; NumVgprs: 17
; ScratchSize: 0
; MemoryBound: 0
; FloatMode: 240
; IeeeMode: 1
; LDSByteSize: 0 bytes/workgroup (compile time only)
; SGPRBlocks: 2
; VGPRBlocks: 4
; NumSGPRsForWavesPerEU: 21
; NumVGPRsForWavesPerEU: 17
; Occupancy: 10
; WaveLimiterHint : 0
; COMPUTE_PGM_RSRC2:SCRATCH_EN: 0
; COMPUTE_PGM_RSRC2:USER_SGPR: 6
; COMPUTE_PGM_RSRC2:TRAP_HANDLER: 0
; COMPUTE_PGM_RSRC2:TGID_X_EN: 1
; COMPUTE_PGM_RSRC2:TGID_Y_EN: 0
; COMPUTE_PGM_RSRC2:TGID_Z_EN: 0
; COMPUTE_PGM_RSRC2:TIDIG_COMP_CNT: 0
	.section	.text._ZN9rocsparseL19nnz_compress_kernelILi1024ELi128ELi8E21rocsparse_complex_numIfEEEvi21rocsparse_index_base_PKT2_PKiPiS4_,"axG",@progbits,_ZN9rocsparseL19nnz_compress_kernelILi1024ELi128ELi8E21rocsparse_complex_numIfEEEvi21rocsparse_index_base_PKT2_PKiPiS4_,comdat
	.globl	_ZN9rocsparseL19nnz_compress_kernelILi1024ELi128ELi8E21rocsparse_complex_numIfEEEvi21rocsparse_index_base_PKT2_PKiPiS4_ ; -- Begin function _ZN9rocsparseL19nnz_compress_kernelILi1024ELi128ELi8E21rocsparse_complex_numIfEEEvi21rocsparse_index_base_PKT2_PKiPiS4_
	.p2align	8
	.type	_ZN9rocsparseL19nnz_compress_kernelILi1024ELi128ELi8E21rocsparse_complex_numIfEEEvi21rocsparse_index_base_PKT2_PKiPiS4_,@function
_ZN9rocsparseL19nnz_compress_kernelILi1024ELi128ELi8E21rocsparse_complex_numIfEEEvi21rocsparse_index_base_PKT2_PKiPiS4_: ; @_ZN9rocsparseL19nnz_compress_kernelILi1024ELi128ELi8E21rocsparse_complex_numIfEEEvi21rocsparse_index_base_PKT2_PKiPiS4_
; %bb.0:
	s_load_dwordx2 s[0:1], s[4:5], 0x0
	v_lshrrev_b32_e32 v1, 3, v0
	v_lshl_or_b32 v1, s6, 7, v1
	s_waitcnt lgkmcnt(0)
	v_cmp_gt_i32_e32 vcc, s0, v1
	s_and_saveexec_b64 s[2:3], vcc
	s_cbranch_execz .LBB14_22
; %bb.1:
	s_load_dwordx4 s[8:11], s[4:5], 0x10
	v_ashrrev_i32_e32 v2, 31, v1
	v_lshlrev_b64 v[1:2], 2, v[1:2]
	v_and_b32_e32 v0, 7, v0
	v_subrev_u32_e32 v5, s1, v0
	s_waitcnt lgkmcnt(0)
	v_mov_b32_e32 v4, s9
	v_add_co_u32_e32 v3, vcc, s8, v1
	v_addc_co_u32_e32 v4, vcc, v4, v2, vcc
	global_load_dwordx2 v[3:4], v[3:4], off
	v_mov_b32_e32 v8, 0
	s_waitcnt vmcnt(0)
	v_subrev_u32_e32 v0, s1, v4
	v_add_u32_e32 v3, v3, v5
	v_cmp_lt_i32_e32 vcc, v3, v0
	s_and_saveexec_b64 s[6:7], vcc
	s_cbranch_execz .LBB14_21
; %bb.2:
	s_load_dwordx2 s[0:1], s[4:5], 0x8
	s_load_dword s14, s[4:5], 0x20
	v_ashrrev_i32_e32 v4, 31, v3
	v_lshlrev_b64 v[4:5], 3, v[3:4]
	v_mov_b32_e32 v8, 0
	s_waitcnt lgkmcnt(0)
	v_mov_b32_e32 v6, s1
	v_add_co_u32_e32 v4, vcc, s0, v4
	v_addc_co_u32_e32 v5, vcc, v6, v5, vcc
	v_add_co_u32_e32 v4, vcc, 4, v4
	v_addc_co_u32_e32 v5, vcc, 0, v5, vcc
	s_mov_b64 s[4:5], 0
	s_mov_b32 s15, 0xf800000
	v_mov_b32_e32 v9, 0x260
	s_mov_b32 s16, 0x800000
	s_branch .LBB14_5
.LBB14_3:                               ;   in Loop: Header=BB14_5 Depth=1
	s_or_b64 exec, exec, s[0:1]
.LBB14_4:                               ;   in Loop: Header=BB14_5 Depth=1
	s_or_b64 exec, exec, s[2:3]
	v_add_u32_e32 v3, 8, v3
	v_cmp_ge_i32_e32 vcc, v3, v0
	s_or_b64 s[4:5], vcc, s[4:5]
	v_add_co_u32_e32 v4, vcc, 64, v4
	v_addc_co_u32_e32 v5, vcc, 0, v5, vcc
	s_andn2_b64 exec, exec, s[4:5]
	s_cbranch_execz .LBB14_20
.LBB14_5:                               ; =>This Inner Loop Header: Depth=1
	global_load_dwordx2 v[6:7], v[4:5], off offset:-4
                                        ; implicit-def: $vgpr11
	s_waitcnt vmcnt(0)
	v_cmp_gt_f32_e32 vcc, 0, v6
	v_cndmask_b32_e64 v6, v6, -v6, vcc
	v_cmp_gt_f32_e32 vcc, 0, v7
	v_cndmask_b32_e64 v10, v7, -v7, vcc
	v_cmp_ngt_f32_e64 s[0:1], v6, v10
	s_and_saveexec_b64 s[2:3], s[0:1]
	s_xor_b64 s[8:9], exec, s[2:3]
	s_cbranch_execnz .LBB14_8
; %bb.6:                                ;   in Loop: Header=BB14_5 Depth=1
	s_andn2_saveexec_b64 s[8:9], s[8:9]
	s_cbranch_execnz .LBB14_11
.LBB14_7:                               ;   in Loop: Header=BB14_5 Depth=1
	s_or_b64 exec, exec, s[8:9]
	v_cmp_lt_f32_e32 vcc, s14, v11
	s_and_saveexec_b64 s[2:3], vcc
	s_cbranch_execz .LBB14_4
	s_branch .LBB14_12
.LBB14_8:                               ;   in Loop: Header=BB14_5 Depth=1
	v_mov_b32_e32 v11, 0
	v_cmp_neq_f32_e32 vcc, 0, v7
	s_and_saveexec_b64 s[12:13], vcc
	s_cbranch_execz .LBB14_10
; %bb.9:                                ;   in Loop: Header=BB14_5 Depth=1
	v_div_scale_f32 v11, s[2:3], v10, v10, v6
	v_div_scale_f32 v12, vcc, v6, v10, v6
	v_rcp_f32_e32 v13, v11
	v_fma_f32 v14, -v11, v13, 1.0
	v_fmac_f32_e32 v13, v14, v13
	v_mul_f32_e32 v14, v12, v13
	v_fma_f32 v15, -v11, v14, v12
	v_fmac_f32_e32 v14, v15, v13
	v_fma_f32 v11, -v11, v14, v12
	v_div_fmas_f32 v11, v11, v13, v14
	v_div_fixup_f32 v11, v11, v10, v6
	v_fma_f32 v11, v11, v11, 1.0
	v_mul_f32_e32 v12, 0x4f800000, v11
	v_cmp_gt_f32_e32 vcc, s15, v11
	v_cndmask_b32_e32 v11, v11, v12, vcc
	v_sqrt_f32_e32 v12, v11
	v_add_u32_e32 v13, -1, v12
	v_add_u32_e32 v14, 1, v12
	v_fma_f32 v15, -v13, v12, v11
	v_fma_f32 v16, -v14, v12, v11
	v_cmp_ge_f32_e64 s[2:3], 0, v15
	v_cndmask_b32_e64 v12, v12, v13, s[2:3]
	v_cmp_lt_f32_e64 s[2:3], 0, v16
	v_cndmask_b32_e64 v12, v12, v14, s[2:3]
	v_mul_f32_e32 v13, 0x37800000, v12
	v_cndmask_b32_e32 v12, v12, v13, vcc
	v_cmp_class_f32_e32 vcc, v11, v9
	v_cndmask_b32_e32 v11, v12, v11, vcc
	v_mul_f32_e32 v11, v10, v11
.LBB14_10:                              ;   in Loop: Header=BB14_5 Depth=1
	s_or_b64 exec, exec, s[12:13]
	s_andn2_saveexec_b64 s[8:9], s[8:9]
	s_cbranch_execz .LBB14_7
.LBB14_11:                              ;   in Loop: Header=BB14_5 Depth=1
	v_div_scale_f32 v11, s[2:3], v6, v6, v10
	v_div_scale_f32 v12, vcc, v10, v6, v10
	v_rcp_f32_e32 v13, v11
	v_fma_f32 v14, -v11, v13, 1.0
	v_fmac_f32_e32 v13, v14, v13
	v_mul_f32_e32 v14, v12, v13
	v_fma_f32 v15, -v11, v14, v12
	v_fmac_f32_e32 v14, v15, v13
	v_fma_f32 v11, -v11, v14, v12
	v_div_fmas_f32 v11, v11, v13, v14
	v_div_fixup_f32 v11, v11, v6, v10
	v_fma_f32 v11, v11, v11, 1.0
	v_mul_f32_e32 v12, 0x4f800000, v11
	v_cmp_gt_f32_e32 vcc, s15, v11
	v_cndmask_b32_e32 v11, v11, v12, vcc
	v_sqrt_f32_e32 v12, v11
	v_add_u32_e32 v13, -1, v12
	v_add_u32_e32 v14, 1, v12
	v_fma_f32 v15, -v13, v12, v11
	v_fma_f32 v16, -v14, v12, v11
	v_cmp_ge_f32_e64 s[2:3], 0, v15
	v_cndmask_b32_e64 v12, v12, v13, s[2:3]
	v_cmp_lt_f32_e64 s[2:3], 0, v16
	v_cndmask_b32_e64 v12, v12, v14, s[2:3]
	v_mul_f32_e32 v13, 0x37800000, v12
	v_cndmask_b32_e32 v12, v12, v13, vcc
	v_cmp_class_f32_e32 vcc, v11, v9
	v_cndmask_b32_e32 v11, v12, v11, vcc
	v_mul_f32_e32 v11, v6, v11
	s_or_b64 exec, exec, s[8:9]
	v_cmp_lt_f32_e32 vcc, s14, v11
	s_and_saveexec_b64 s[2:3], vcc
	s_cbranch_execz .LBB14_4
.LBB14_12:                              ;   in Loop: Header=BB14_5 Depth=1
                                        ; implicit-def: $vgpr11
	s_and_saveexec_b64 s[8:9], s[0:1]
	s_xor_b64 s[8:9], exec, s[8:9]
	s_cbranch_execnz .LBB14_15
; %bb.13:                               ;   in Loop: Header=BB14_5 Depth=1
	s_andn2_saveexec_b64 s[8:9], s[8:9]
	s_cbranch_execnz .LBB14_18
.LBB14_14:                              ;   in Loop: Header=BB14_5 Depth=1
	s_or_b64 exec, exec, s[8:9]
	v_cmp_lt_f32_e32 vcc, s16, v11
	s_and_saveexec_b64 s[0:1], vcc
	s_cbranch_execz .LBB14_3
	s_branch .LBB14_19
.LBB14_15:                              ;   in Loop: Header=BB14_5 Depth=1
	v_mov_b32_e32 v11, 0
	v_cmp_neq_f32_e32 vcc, 0, v7
	s_and_saveexec_b64 s[12:13], vcc
	s_cbranch_execz .LBB14_17
; %bb.16:                               ;   in Loop: Header=BB14_5 Depth=1
	v_div_scale_f32 v7, s[0:1], v10, v10, v6
	v_div_scale_f32 v11, vcc, v6, v10, v6
	v_rcp_f32_e32 v12, v7
	v_fma_f32 v13, -v7, v12, 1.0
	v_fmac_f32_e32 v12, v13, v12
	v_mul_f32_e32 v13, v11, v12
	v_fma_f32 v14, -v7, v13, v11
	v_fmac_f32_e32 v13, v14, v12
	v_fma_f32 v7, -v7, v13, v11
	v_div_fmas_f32 v7, v7, v12, v13
	v_div_fixup_f32 v6, v7, v10, v6
	v_fma_f32 v6, v6, v6, 1.0
	v_mul_f32_e32 v7, 0x4f800000, v6
	v_cmp_gt_f32_e32 vcc, s15, v6
	v_cndmask_b32_e32 v6, v6, v7, vcc
	v_sqrt_f32_e32 v7, v6
	v_add_u32_e32 v11, -1, v7
	v_add_u32_e32 v12, 1, v7
	v_fma_f32 v13, -v11, v7, v6
	v_fma_f32 v14, -v12, v7, v6
	v_cmp_ge_f32_e64 s[0:1], 0, v13
	v_cndmask_b32_e64 v7, v7, v11, s[0:1]
	v_cmp_lt_f32_e64 s[0:1], 0, v14
	v_cndmask_b32_e64 v7, v7, v12, s[0:1]
	v_mul_f32_e32 v11, 0x37800000, v7
	v_cndmask_b32_e32 v7, v7, v11, vcc
	v_cmp_class_f32_e32 vcc, v6, v9
	v_cndmask_b32_e32 v6, v7, v6, vcc
	v_mul_f32_e32 v11, v10, v6
.LBB14_17:                              ;   in Loop: Header=BB14_5 Depth=1
	s_or_b64 exec, exec, s[12:13]
                                        ; implicit-def: $vgpr6
                                        ; implicit-def: $vgpr10
	s_andn2_saveexec_b64 s[8:9], s[8:9]
	s_cbranch_execz .LBB14_14
.LBB14_18:                              ;   in Loop: Header=BB14_5 Depth=1
	v_div_scale_f32 v7, s[0:1], v6, v6, v10
	v_div_scale_f32 v11, vcc, v10, v6, v10
	v_rcp_f32_e32 v12, v7
	v_fma_f32 v13, -v7, v12, 1.0
	v_fmac_f32_e32 v12, v13, v12
	v_mul_f32_e32 v13, v11, v12
	v_fma_f32 v14, -v7, v13, v11
	v_fmac_f32_e32 v13, v14, v12
	v_fma_f32 v7, -v7, v13, v11
	v_div_fmas_f32 v7, v7, v12, v13
	v_div_fixup_f32 v7, v7, v6, v10
	v_fma_f32 v7, v7, v7, 1.0
	v_mul_f32_e32 v10, 0x4f800000, v7
	v_cmp_gt_f32_e32 vcc, s15, v7
	v_cndmask_b32_e32 v7, v7, v10, vcc
	v_sqrt_f32_e32 v10, v7
	v_add_u32_e32 v11, -1, v10
	v_add_u32_e32 v12, 1, v10
	v_fma_f32 v13, -v11, v10, v7
	v_fma_f32 v14, -v12, v10, v7
	v_cmp_ge_f32_e64 s[0:1], 0, v13
	v_cndmask_b32_e64 v10, v10, v11, s[0:1]
	v_cmp_lt_f32_e64 s[0:1], 0, v14
	v_cndmask_b32_e64 v10, v10, v12, s[0:1]
	v_mul_f32_e32 v11, 0x37800000, v10
	v_cndmask_b32_e32 v10, v10, v11, vcc
	v_cmp_class_f32_e32 vcc, v7, v9
	v_cndmask_b32_e32 v7, v10, v7, vcc
	v_mul_f32_e32 v11, v6, v7
	s_or_b64 exec, exec, s[8:9]
	v_cmp_lt_f32_e32 vcc, s16, v11
	s_and_saveexec_b64 s[0:1], vcc
	s_cbranch_execz .LBB14_3
.LBB14_19:                              ;   in Loop: Header=BB14_5 Depth=1
	v_add_u32_e32 v8, 1, v8
	s_branch .LBB14_3
.LBB14_20:
	s_or_b64 exec, exec, s[4:5]
.LBB14_21:
	s_or_b64 exec, exec, s[6:7]
	v_mov_b32_dpp v0, v8 row_shr:1 row_mask:0xf bank_mask:0xf
	v_add_u32_e32 v0, v0, v8
	v_mov_b32_e32 v4, s11
	s_nop 0
	v_mov_b32_dpp v3, v0 row_shr:2 row_mask:0xf bank_mask:0xf
	v_add_u32_e32 v0, v0, v3
	s_nop 1
	v_mov_b32_dpp v3, v0 row_shr:4 row_mask:0xf bank_mask:0xe
	v_add_u32_e32 v0, v0, v3
	v_mbcnt_lo_u32_b32 v3, -1, 0
	v_mbcnt_hi_u32_b32 v3, -1, v3
	v_lshl_or_b32 v3, v3, 2, 28
	ds_bpermute_b32 v3, v3, v0
	v_add_co_u32_e32 v0, vcc, s10, v1
	v_addc_co_u32_e32 v1, vcc, v4, v2, vcc
	s_waitcnt lgkmcnt(0)
	global_store_dword v[0:1], v3, off
.LBB14_22:
	s_endpgm
	.section	.rodata,"a",@progbits
	.p2align	6, 0x0
	.amdhsa_kernel _ZN9rocsparseL19nnz_compress_kernelILi1024ELi128ELi8E21rocsparse_complex_numIfEEEvi21rocsparse_index_base_PKT2_PKiPiS4_
		.amdhsa_group_segment_fixed_size 0
		.amdhsa_private_segment_fixed_size 0
		.amdhsa_kernarg_size 40
		.amdhsa_user_sgpr_count 6
		.amdhsa_user_sgpr_private_segment_buffer 1
		.amdhsa_user_sgpr_dispatch_ptr 0
		.amdhsa_user_sgpr_queue_ptr 0
		.amdhsa_user_sgpr_kernarg_segment_ptr 1
		.amdhsa_user_sgpr_dispatch_id 0
		.amdhsa_user_sgpr_flat_scratch_init 0
		.amdhsa_user_sgpr_private_segment_size 0
		.amdhsa_uses_dynamic_stack 0
		.amdhsa_system_sgpr_private_segment_wavefront_offset 0
		.amdhsa_system_sgpr_workgroup_id_x 1
		.amdhsa_system_sgpr_workgroup_id_y 0
		.amdhsa_system_sgpr_workgroup_id_z 0
		.amdhsa_system_sgpr_workgroup_info 0
		.amdhsa_system_vgpr_workitem_id 0
		.amdhsa_next_free_vgpr 17
		.amdhsa_next_free_sgpr 17
		.amdhsa_reserve_vcc 1
		.amdhsa_reserve_flat_scratch 0
		.amdhsa_float_round_mode_32 0
		.amdhsa_float_round_mode_16_64 0
		.amdhsa_float_denorm_mode_32 3
		.amdhsa_float_denorm_mode_16_64 3
		.amdhsa_dx10_clamp 1
		.amdhsa_ieee_mode 1
		.amdhsa_fp16_overflow 0
		.amdhsa_exception_fp_ieee_invalid_op 0
		.amdhsa_exception_fp_denorm_src 0
		.amdhsa_exception_fp_ieee_div_zero 0
		.amdhsa_exception_fp_ieee_overflow 0
		.amdhsa_exception_fp_ieee_underflow 0
		.amdhsa_exception_fp_ieee_inexact 0
		.amdhsa_exception_int_div_zero 0
	.end_amdhsa_kernel
	.section	.text._ZN9rocsparseL19nnz_compress_kernelILi1024ELi128ELi8E21rocsparse_complex_numIfEEEvi21rocsparse_index_base_PKT2_PKiPiS4_,"axG",@progbits,_ZN9rocsparseL19nnz_compress_kernelILi1024ELi128ELi8E21rocsparse_complex_numIfEEEvi21rocsparse_index_base_PKT2_PKiPiS4_,comdat
.Lfunc_end14:
	.size	_ZN9rocsparseL19nnz_compress_kernelILi1024ELi128ELi8E21rocsparse_complex_numIfEEEvi21rocsparse_index_base_PKT2_PKiPiS4_, .Lfunc_end14-_ZN9rocsparseL19nnz_compress_kernelILi1024ELi128ELi8E21rocsparse_complex_numIfEEEvi21rocsparse_index_base_PKT2_PKiPiS4_
                                        ; -- End function
	.set _ZN9rocsparseL19nnz_compress_kernelILi1024ELi128ELi8E21rocsparse_complex_numIfEEEvi21rocsparse_index_base_PKT2_PKiPiS4_.num_vgpr, 17
	.set _ZN9rocsparseL19nnz_compress_kernelILi1024ELi128ELi8E21rocsparse_complex_numIfEEEvi21rocsparse_index_base_PKT2_PKiPiS4_.num_agpr, 0
	.set _ZN9rocsparseL19nnz_compress_kernelILi1024ELi128ELi8E21rocsparse_complex_numIfEEEvi21rocsparse_index_base_PKT2_PKiPiS4_.numbered_sgpr, 17
	.set _ZN9rocsparseL19nnz_compress_kernelILi1024ELi128ELi8E21rocsparse_complex_numIfEEEvi21rocsparse_index_base_PKT2_PKiPiS4_.num_named_barrier, 0
	.set _ZN9rocsparseL19nnz_compress_kernelILi1024ELi128ELi8E21rocsparse_complex_numIfEEEvi21rocsparse_index_base_PKT2_PKiPiS4_.private_seg_size, 0
	.set _ZN9rocsparseL19nnz_compress_kernelILi1024ELi128ELi8E21rocsparse_complex_numIfEEEvi21rocsparse_index_base_PKT2_PKiPiS4_.uses_vcc, 1
	.set _ZN9rocsparseL19nnz_compress_kernelILi1024ELi128ELi8E21rocsparse_complex_numIfEEEvi21rocsparse_index_base_PKT2_PKiPiS4_.uses_flat_scratch, 0
	.set _ZN9rocsparseL19nnz_compress_kernelILi1024ELi128ELi8E21rocsparse_complex_numIfEEEvi21rocsparse_index_base_PKT2_PKiPiS4_.has_dyn_sized_stack, 0
	.set _ZN9rocsparseL19nnz_compress_kernelILi1024ELi128ELi8E21rocsparse_complex_numIfEEEvi21rocsparse_index_base_PKT2_PKiPiS4_.has_recursion, 0
	.set _ZN9rocsparseL19nnz_compress_kernelILi1024ELi128ELi8E21rocsparse_complex_numIfEEEvi21rocsparse_index_base_PKT2_PKiPiS4_.has_indirect_call, 0
	.section	.AMDGPU.csdata,"",@progbits
; Kernel info:
; codeLenInByte = 1292
; TotalNumSgprs: 21
; NumVgprs: 17
; ScratchSize: 0
; MemoryBound: 0
; FloatMode: 240
; IeeeMode: 1
; LDSByteSize: 0 bytes/workgroup (compile time only)
; SGPRBlocks: 2
; VGPRBlocks: 4
; NumSGPRsForWavesPerEU: 21
; NumVGPRsForWavesPerEU: 17
; Occupancy: 10
; WaveLimiterHint : 0
; COMPUTE_PGM_RSRC2:SCRATCH_EN: 0
; COMPUTE_PGM_RSRC2:USER_SGPR: 6
; COMPUTE_PGM_RSRC2:TRAP_HANDLER: 0
; COMPUTE_PGM_RSRC2:TGID_X_EN: 1
; COMPUTE_PGM_RSRC2:TGID_Y_EN: 0
; COMPUTE_PGM_RSRC2:TGID_Z_EN: 0
; COMPUTE_PGM_RSRC2:TIDIG_COMP_CNT: 0
	.section	.text._ZN9rocsparseL19nnz_compress_kernelILi1024ELi64ELi16E21rocsparse_complex_numIfEEEvi21rocsparse_index_base_PKT2_PKiPiS4_,"axG",@progbits,_ZN9rocsparseL19nnz_compress_kernelILi1024ELi64ELi16E21rocsparse_complex_numIfEEEvi21rocsparse_index_base_PKT2_PKiPiS4_,comdat
	.globl	_ZN9rocsparseL19nnz_compress_kernelILi1024ELi64ELi16E21rocsparse_complex_numIfEEEvi21rocsparse_index_base_PKT2_PKiPiS4_ ; -- Begin function _ZN9rocsparseL19nnz_compress_kernelILi1024ELi64ELi16E21rocsparse_complex_numIfEEEvi21rocsparse_index_base_PKT2_PKiPiS4_
	.p2align	8
	.type	_ZN9rocsparseL19nnz_compress_kernelILi1024ELi64ELi16E21rocsparse_complex_numIfEEEvi21rocsparse_index_base_PKT2_PKiPiS4_,@function
_ZN9rocsparseL19nnz_compress_kernelILi1024ELi64ELi16E21rocsparse_complex_numIfEEEvi21rocsparse_index_base_PKT2_PKiPiS4_: ; @_ZN9rocsparseL19nnz_compress_kernelILi1024ELi64ELi16E21rocsparse_complex_numIfEEEvi21rocsparse_index_base_PKT2_PKiPiS4_
; %bb.0:
	s_load_dwordx2 s[0:1], s[4:5], 0x0
	v_lshrrev_b32_e32 v1, 4, v0
	v_lshl_or_b32 v1, s6, 6, v1
	s_waitcnt lgkmcnt(0)
	v_cmp_gt_i32_e32 vcc, s0, v1
	s_and_saveexec_b64 s[2:3], vcc
	s_cbranch_execz .LBB15_22
; %bb.1:
	s_load_dwordx4 s[8:11], s[4:5], 0x10
	v_ashrrev_i32_e32 v2, 31, v1
	v_lshlrev_b64 v[1:2], 2, v[1:2]
	v_and_b32_e32 v0, 15, v0
	v_subrev_u32_e32 v5, s1, v0
	s_waitcnt lgkmcnt(0)
	v_mov_b32_e32 v4, s9
	v_add_co_u32_e32 v3, vcc, s8, v1
	v_addc_co_u32_e32 v4, vcc, v4, v2, vcc
	global_load_dwordx2 v[3:4], v[3:4], off
	v_mov_b32_e32 v8, 0
	s_waitcnt vmcnt(0)
	v_subrev_u32_e32 v0, s1, v4
	v_add_u32_e32 v3, v3, v5
	v_cmp_lt_i32_e32 vcc, v3, v0
	s_and_saveexec_b64 s[6:7], vcc
	s_cbranch_execz .LBB15_21
; %bb.2:
	s_load_dwordx2 s[0:1], s[4:5], 0x8
	s_load_dword s14, s[4:5], 0x20
	v_ashrrev_i32_e32 v4, 31, v3
	v_lshlrev_b64 v[4:5], 3, v[3:4]
	v_mov_b32_e32 v8, 0
	s_waitcnt lgkmcnt(0)
	v_mov_b32_e32 v6, s1
	v_add_co_u32_e32 v4, vcc, s0, v4
	v_addc_co_u32_e32 v5, vcc, v6, v5, vcc
	v_add_co_u32_e32 v4, vcc, 4, v4
	v_addc_co_u32_e32 v5, vcc, 0, v5, vcc
	s_mov_b64 s[4:5], 0
	s_mov_b32 s15, 0xf800000
	v_mov_b32_e32 v9, 0x260
	s_mov_b32 s16, 0x800000
	s_branch .LBB15_5
.LBB15_3:                               ;   in Loop: Header=BB15_5 Depth=1
	s_or_b64 exec, exec, s[0:1]
.LBB15_4:                               ;   in Loop: Header=BB15_5 Depth=1
	s_or_b64 exec, exec, s[2:3]
	v_add_u32_e32 v3, 16, v3
	v_add_co_u32_e32 v4, vcc, 0x80, v4
	v_cmp_ge_i32_e64 s[0:1], v3, v0
	s_or_b64 s[4:5], s[0:1], s[4:5]
	v_addc_co_u32_e32 v5, vcc, 0, v5, vcc
	s_andn2_b64 exec, exec, s[4:5]
	s_cbranch_execz .LBB15_20
.LBB15_5:                               ; =>This Inner Loop Header: Depth=1
	global_load_dwordx2 v[6:7], v[4:5], off offset:-4
                                        ; implicit-def: $vgpr11
	s_waitcnt vmcnt(0)
	v_cmp_gt_f32_e32 vcc, 0, v6
	v_cndmask_b32_e64 v6, v6, -v6, vcc
	v_cmp_gt_f32_e32 vcc, 0, v7
	v_cndmask_b32_e64 v10, v7, -v7, vcc
	v_cmp_ngt_f32_e64 s[0:1], v6, v10
	s_and_saveexec_b64 s[2:3], s[0:1]
	s_xor_b64 s[8:9], exec, s[2:3]
	s_cbranch_execnz .LBB15_8
; %bb.6:                                ;   in Loop: Header=BB15_5 Depth=1
	s_andn2_saveexec_b64 s[8:9], s[8:9]
	s_cbranch_execnz .LBB15_11
.LBB15_7:                               ;   in Loop: Header=BB15_5 Depth=1
	s_or_b64 exec, exec, s[8:9]
	v_cmp_lt_f32_e32 vcc, s14, v11
	s_and_saveexec_b64 s[2:3], vcc
	s_cbranch_execz .LBB15_4
	s_branch .LBB15_12
.LBB15_8:                               ;   in Loop: Header=BB15_5 Depth=1
	v_mov_b32_e32 v11, 0
	v_cmp_neq_f32_e32 vcc, 0, v7
	s_and_saveexec_b64 s[12:13], vcc
	s_cbranch_execz .LBB15_10
; %bb.9:                                ;   in Loop: Header=BB15_5 Depth=1
	v_div_scale_f32 v11, s[2:3], v10, v10, v6
	v_div_scale_f32 v12, vcc, v6, v10, v6
	v_rcp_f32_e32 v13, v11
	v_fma_f32 v14, -v11, v13, 1.0
	v_fmac_f32_e32 v13, v14, v13
	v_mul_f32_e32 v14, v12, v13
	v_fma_f32 v15, -v11, v14, v12
	v_fmac_f32_e32 v14, v15, v13
	v_fma_f32 v11, -v11, v14, v12
	v_div_fmas_f32 v11, v11, v13, v14
	v_div_fixup_f32 v11, v11, v10, v6
	v_fma_f32 v11, v11, v11, 1.0
	v_mul_f32_e32 v12, 0x4f800000, v11
	v_cmp_gt_f32_e32 vcc, s15, v11
	v_cndmask_b32_e32 v11, v11, v12, vcc
	v_sqrt_f32_e32 v12, v11
	v_add_u32_e32 v13, -1, v12
	v_add_u32_e32 v14, 1, v12
	v_fma_f32 v15, -v13, v12, v11
	v_fma_f32 v16, -v14, v12, v11
	v_cmp_ge_f32_e64 s[2:3], 0, v15
	v_cndmask_b32_e64 v12, v12, v13, s[2:3]
	v_cmp_lt_f32_e64 s[2:3], 0, v16
	v_cndmask_b32_e64 v12, v12, v14, s[2:3]
	v_mul_f32_e32 v13, 0x37800000, v12
	v_cndmask_b32_e32 v12, v12, v13, vcc
	v_cmp_class_f32_e32 vcc, v11, v9
	v_cndmask_b32_e32 v11, v12, v11, vcc
	v_mul_f32_e32 v11, v10, v11
.LBB15_10:                              ;   in Loop: Header=BB15_5 Depth=1
	s_or_b64 exec, exec, s[12:13]
	s_andn2_saveexec_b64 s[8:9], s[8:9]
	s_cbranch_execz .LBB15_7
.LBB15_11:                              ;   in Loop: Header=BB15_5 Depth=1
	v_div_scale_f32 v11, s[2:3], v6, v6, v10
	v_div_scale_f32 v12, vcc, v10, v6, v10
	v_rcp_f32_e32 v13, v11
	v_fma_f32 v14, -v11, v13, 1.0
	v_fmac_f32_e32 v13, v14, v13
	v_mul_f32_e32 v14, v12, v13
	v_fma_f32 v15, -v11, v14, v12
	v_fmac_f32_e32 v14, v15, v13
	v_fma_f32 v11, -v11, v14, v12
	v_div_fmas_f32 v11, v11, v13, v14
	v_div_fixup_f32 v11, v11, v6, v10
	v_fma_f32 v11, v11, v11, 1.0
	v_mul_f32_e32 v12, 0x4f800000, v11
	v_cmp_gt_f32_e32 vcc, s15, v11
	v_cndmask_b32_e32 v11, v11, v12, vcc
	v_sqrt_f32_e32 v12, v11
	v_add_u32_e32 v13, -1, v12
	v_add_u32_e32 v14, 1, v12
	v_fma_f32 v15, -v13, v12, v11
	v_fma_f32 v16, -v14, v12, v11
	v_cmp_ge_f32_e64 s[2:3], 0, v15
	v_cndmask_b32_e64 v12, v12, v13, s[2:3]
	v_cmp_lt_f32_e64 s[2:3], 0, v16
	v_cndmask_b32_e64 v12, v12, v14, s[2:3]
	v_mul_f32_e32 v13, 0x37800000, v12
	v_cndmask_b32_e32 v12, v12, v13, vcc
	v_cmp_class_f32_e32 vcc, v11, v9
	v_cndmask_b32_e32 v11, v12, v11, vcc
	v_mul_f32_e32 v11, v6, v11
	s_or_b64 exec, exec, s[8:9]
	v_cmp_lt_f32_e32 vcc, s14, v11
	s_and_saveexec_b64 s[2:3], vcc
	s_cbranch_execz .LBB15_4
.LBB15_12:                              ;   in Loop: Header=BB15_5 Depth=1
                                        ; implicit-def: $vgpr11
	s_and_saveexec_b64 s[8:9], s[0:1]
	s_xor_b64 s[8:9], exec, s[8:9]
	s_cbranch_execnz .LBB15_15
; %bb.13:                               ;   in Loop: Header=BB15_5 Depth=1
	s_andn2_saveexec_b64 s[8:9], s[8:9]
	s_cbranch_execnz .LBB15_18
.LBB15_14:                              ;   in Loop: Header=BB15_5 Depth=1
	s_or_b64 exec, exec, s[8:9]
	v_cmp_lt_f32_e32 vcc, s16, v11
	s_and_saveexec_b64 s[0:1], vcc
	s_cbranch_execz .LBB15_3
	s_branch .LBB15_19
.LBB15_15:                              ;   in Loop: Header=BB15_5 Depth=1
	v_mov_b32_e32 v11, 0
	v_cmp_neq_f32_e32 vcc, 0, v7
	s_and_saveexec_b64 s[12:13], vcc
	s_cbranch_execz .LBB15_17
; %bb.16:                               ;   in Loop: Header=BB15_5 Depth=1
	v_div_scale_f32 v7, s[0:1], v10, v10, v6
	v_div_scale_f32 v11, vcc, v6, v10, v6
	v_rcp_f32_e32 v12, v7
	v_fma_f32 v13, -v7, v12, 1.0
	v_fmac_f32_e32 v12, v13, v12
	v_mul_f32_e32 v13, v11, v12
	v_fma_f32 v14, -v7, v13, v11
	v_fmac_f32_e32 v13, v14, v12
	v_fma_f32 v7, -v7, v13, v11
	v_div_fmas_f32 v7, v7, v12, v13
	v_div_fixup_f32 v6, v7, v10, v6
	v_fma_f32 v6, v6, v6, 1.0
	v_mul_f32_e32 v7, 0x4f800000, v6
	v_cmp_gt_f32_e32 vcc, s15, v6
	v_cndmask_b32_e32 v6, v6, v7, vcc
	v_sqrt_f32_e32 v7, v6
	v_add_u32_e32 v11, -1, v7
	v_add_u32_e32 v12, 1, v7
	v_fma_f32 v13, -v11, v7, v6
	v_fma_f32 v14, -v12, v7, v6
	v_cmp_ge_f32_e64 s[0:1], 0, v13
	v_cndmask_b32_e64 v7, v7, v11, s[0:1]
	v_cmp_lt_f32_e64 s[0:1], 0, v14
	v_cndmask_b32_e64 v7, v7, v12, s[0:1]
	v_mul_f32_e32 v11, 0x37800000, v7
	v_cndmask_b32_e32 v7, v7, v11, vcc
	v_cmp_class_f32_e32 vcc, v6, v9
	v_cndmask_b32_e32 v6, v7, v6, vcc
	v_mul_f32_e32 v11, v10, v6
.LBB15_17:                              ;   in Loop: Header=BB15_5 Depth=1
	s_or_b64 exec, exec, s[12:13]
                                        ; implicit-def: $vgpr6
                                        ; implicit-def: $vgpr10
	s_andn2_saveexec_b64 s[8:9], s[8:9]
	s_cbranch_execz .LBB15_14
.LBB15_18:                              ;   in Loop: Header=BB15_5 Depth=1
	v_div_scale_f32 v7, s[0:1], v6, v6, v10
	v_div_scale_f32 v11, vcc, v10, v6, v10
	v_rcp_f32_e32 v12, v7
	v_fma_f32 v13, -v7, v12, 1.0
	v_fmac_f32_e32 v12, v13, v12
	v_mul_f32_e32 v13, v11, v12
	v_fma_f32 v14, -v7, v13, v11
	v_fmac_f32_e32 v13, v14, v12
	v_fma_f32 v7, -v7, v13, v11
	v_div_fmas_f32 v7, v7, v12, v13
	v_div_fixup_f32 v7, v7, v6, v10
	v_fma_f32 v7, v7, v7, 1.0
	v_mul_f32_e32 v10, 0x4f800000, v7
	v_cmp_gt_f32_e32 vcc, s15, v7
	v_cndmask_b32_e32 v7, v7, v10, vcc
	v_sqrt_f32_e32 v10, v7
	v_add_u32_e32 v11, -1, v10
	v_add_u32_e32 v12, 1, v10
	v_fma_f32 v13, -v11, v10, v7
	v_fma_f32 v14, -v12, v10, v7
	v_cmp_ge_f32_e64 s[0:1], 0, v13
	v_cndmask_b32_e64 v10, v10, v11, s[0:1]
	v_cmp_lt_f32_e64 s[0:1], 0, v14
	v_cndmask_b32_e64 v10, v10, v12, s[0:1]
	v_mul_f32_e32 v11, 0x37800000, v10
	v_cndmask_b32_e32 v10, v10, v11, vcc
	v_cmp_class_f32_e32 vcc, v7, v9
	v_cndmask_b32_e32 v7, v10, v7, vcc
	v_mul_f32_e32 v11, v6, v7
	s_or_b64 exec, exec, s[8:9]
	v_cmp_lt_f32_e32 vcc, s16, v11
	s_and_saveexec_b64 s[0:1], vcc
	s_cbranch_execz .LBB15_3
.LBB15_19:                              ;   in Loop: Header=BB15_5 Depth=1
	v_add_u32_e32 v8, 1, v8
	s_branch .LBB15_3
.LBB15_20:
	s_or_b64 exec, exec, s[4:5]
.LBB15_21:
	s_or_b64 exec, exec, s[6:7]
	v_mov_b32_dpp v0, v8 row_shr:1 row_mask:0xf bank_mask:0xf
	v_add_u32_e32 v0, v0, v8
	v_mov_b32_e32 v4, s11
	s_nop 0
	v_mov_b32_dpp v3, v0 row_shr:2 row_mask:0xf bank_mask:0xf
	v_add_u32_e32 v0, v0, v3
	s_nop 1
	v_mov_b32_dpp v3, v0 row_shr:4 row_mask:0xf bank_mask:0xe
	v_add_u32_e32 v0, v0, v3
	;; [unrolled: 3-line block ×3, first 2 shown]
	v_mbcnt_lo_u32_b32 v3, -1, 0
	v_mbcnt_hi_u32_b32 v3, -1, v3
	v_lshl_or_b32 v3, v3, 2, 60
	ds_bpermute_b32 v3, v3, v0
	v_add_co_u32_e32 v0, vcc, s10, v1
	v_addc_co_u32_e32 v1, vcc, v4, v2, vcc
	s_waitcnt lgkmcnt(0)
	global_store_dword v[0:1], v3, off
.LBB15_22:
	s_endpgm
	.section	.rodata,"a",@progbits
	.p2align	6, 0x0
	.amdhsa_kernel _ZN9rocsparseL19nnz_compress_kernelILi1024ELi64ELi16E21rocsparse_complex_numIfEEEvi21rocsparse_index_base_PKT2_PKiPiS4_
		.amdhsa_group_segment_fixed_size 0
		.amdhsa_private_segment_fixed_size 0
		.amdhsa_kernarg_size 40
		.amdhsa_user_sgpr_count 6
		.amdhsa_user_sgpr_private_segment_buffer 1
		.amdhsa_user_sgpr_dispatch_ptr 0
		.amdhsa_user_sgpr_queue_ptr 0
		.amdhsa_user_sgpr_kernarg_segment_ptr 1
		.amdhsa_user_sgpr_dispatch_id 0
		.amdhsa_user_sgpr_flat_scratch_init 0
		.amdhsa_user_sgpr_private_segment_size 0
		.amdhsa_uses_dynamic_stack 0
		.amdhsa_system_sgpr_private_segment_wavefront_offset 0
		.amdhsa_system_sgpr_workgroup_id_x 1
		.amdhsa_system_sgpr_workgroup_id_y 0
		.amdhsa_system_sgpr_workgroup_id_z 0
		.amdhsa_system_sgpr_workgroup_info 0
		.amdhsa_system_vgpr_workitem_id 0
		.amdhsa_next_free_vgpr 17
		.amdhsa_next_free_sgpr 17
		.amdhsa_reserve_vcc 1
		.amdhsa_reserve_flat_scratch 0
		.amdhsa_float_round_mode_32 0
		.amdhsa_float_round_mode_16_64 0
		.amdhsa_float_denorm_mode_32 3
		.amdhsa_float_denorm_mode_16_64 3
		.amdhsa_dx10_clamp 1
		.amdhsa_ieee_mode 1
		.amdhsa_fp16_overflow 0
		.amdhsa_exception_fp_ieee_invalid_op 0
		.amdhsa_exception_fp_denorm_src 0
		.amdhsa_exception_fp_ieee_div_zero 0
		.amdhsa_exception_fp_ieee_overflow 0
		.amdhsa_exception_fp_ieee_underflow 0
		.amdhsa_exception_fp_ieee_inexact 0
		.amdhsa_exception_int_div_zero 0
	.end_amdhsa_kernel
	.section	.text._ZN9rocsparseL19nnz_compress_kernelILi1024ELi64ELi16E21rocsparse_complex_numIfEEEvi21rocsparse_index_base_PKT2_PKiPiS4_,"axG",@progbits,_ZN9rocsparseL19nnz_compress_kernelILi1024ELi64ELi16E21rocsparse_complex_numIfEEEvi21rocsparse_index_base_PKT2_PKiPiS4_,comdat
.Lfunc_end15:
	.size	_ZN9rocsparseL19nnz_compress_kernelILi1024ELi64ELi16E21rocsparse_complex_numIfEEEvi21rocsparse_index_base_PKT2_PKiPiS4_, .Lfunc_end15-_ZN9rocsparseL19nnz_compress_kernelILi1024ELi64ELi16E21rocsparse_complex_numIfEEEvi21rocsparse_index_base_PKT2_PKiPiS4_
                                        ; -- End function
	.set _ZN9rocsparseL19nnz_compress_kernelILi1024ELi64ELi16E21rocsparse_complex_numIfEEEvi21rocsparse_index_base_PKT2_PKiPiS4_.num_vgpr, 17
	.set _ZN9rocsparseL19nnz_compress_kernelILi1024ELi64ELi16E21rocsparse_complex_numIfEEEvi21rocsparse_index_base_PKT2_PKiPiS4_.num_agpr, 0
	.set _ZN9rocsparseL19nnz_compress_kernelILi1024ELi64ELi16E21rocsparse_complex_numIfEEEvi21rocsparse_index_base_PKT2_PKiPiS4_.numbered_sgpr, 17
	.set _ZN9rocsparseL19nnz_compress_kernelILi1024ELi64ELi16E21rocsparse_complex_numIfEEEvi21rocsparse_index_base_PKT2_PKiPiS4_.num_named_barrier, 0
	.set _ZN9rocsparseL19nnz_compress_kernelILi1024ELi64ELi16E21rocsparse_complex_numIfEEEvi21rocsparse_index_base_PKT2_PKiPiS4_.private_seg_size, 0
	.set _ZN9rocsparseL19nnz_compress_kernelILi1024ELi64ELi16E21rocsparse_complex_numIfEEEvi21rocsparse_index_base_PKT2_PKiPiS4_.uses_vcc, 1
	.set _ZN9rocsparseL19nnz_compress_kernelILi1024ELi64ELi16E21rocsparse_complex_numIfEEEvi21rocsparse_index_base_PKT2_PKiPiS4_.uses_flat_scratch, 0
	.set _ZN9rocsparseL19nnz_compress_kernelILi1024ELi64ELi16E21rocsparse_complex_numIfEEEvi21rocsparse_index_base_PKT2_PKiPiS4_.has_dyn_sized_stack, 0
	.set _ZN9rocsparseL19nnz_compress_kernelILi1024ELi64ELi16E21rocsparse_complex_numIfEEEvi21rocsparse_index_base_PKT2_PKiPiS4_.has_recursion, 0
	.set _ZN9rocsparseL19nnz_compress_kernelILi1024ELi64ELi16E21rocsparse_complex_numIfEEEvi21rocsparse_index_base_PKT2_PKiPiS4_.has_indirect_call, 0
	.section	.AMDGPU.csdata,"",@progbits
; Kernel info:
; codeLenInByte = 1316
; TotalNumSgprs: 21
; NumVgprs: 17
; ScratchSize: 0
; MemoryBound: 0
; FloatMode: 240
; IeeeMode: 1
; LDSByteSize: 0 bytes/workgroup (compile time only)
; SGPRBlocks: 2
; VGPRBlocks: 4
; NumSGPRsForWavesPerEU: 21
; NumVGPRsForWavesPerEU: 17
; Occupancy: 10
; WaveLimiterHint : 0
; COMPUTE_PGM_RSRC2:SCRATCH_EN: 0
; COMPUTE_PGM_RSRC2:USER_SGPR: 6
; COMPUTE_PGM_RSRC2:TRAP_HANDLER: 0
; COMPUTE_PGM_RSRC2:TGID_X_EN: 1
; COMPUTE_PGM_RSRC2:TGID_Y_EN: 0
; COMPUTE_PGM_RSRC2:TGID_Z_EN: 0
; COMPUTE_PGM_RSRC2:TIDIG_COMP_CNT: 0
	.section	.text._ZN9rocsparseL19nnz_compress_kernelILi1024ELi32ELi32E21rocsparse_complex_numIfEEEvi21rocsparse_index_base_PKT2_PKiPiS4_,"axG",@progbits,_ZN9rocsparseL19nnz_compress_kernelILi1024ELi32ELi32E21rocsparse_complex_numIfEEEvi21rocsparse_index_base_PKT2_PKiPiS4_,comdat
	.globl	_ZN9rocsparseL19nnz_compress_kernelILi1024ELi32ELi32E21rocsparse_complex_numIfEEEvi21rocsparse_index_base_PKT2_PKiPiS4_ ; -- Begin function _ZN9rocsparseL19nnz_compress_kernelILi1024ELi32ELi32E21rocsparse_complex_numIfEEEvi21rocsparse_index_base_PKT2_PKiPiS4_
	.p2align	8
	.type	_ZN9rocsparseL19nnz_compress_kernelILi1024ELi32ELi32E21rocsparse_complex_numIfEEEvi21rocsparse_index_base_PKT2_PKiPiS4_,@function
_ZN9rocsparseL19nnz_compress_kernelILi1024ELi32ELi32E21rocsparse_complex_numIfEEEvi21rocsparse_index_base_PKT2_PKiPiS4_: ; @_ZN9rocsparseL19nnz_compress_kernelILi1024ELi32ELi32E21rocsparse_complex_numIfEEEvi21rocsparse_index_base_PKT2_PKiPiS4_
; %bb.0:
	s_load_dwordx2 s[0:1], s[4:5], 0x0
	v_lshrrev_b32_e32 v1, 5, v0
	v_lshl_or_b32 v1, s6, 5, v1
	s_waitcnt lgkmcnt(0)
	v_cmp_gt_i32_e32 vcc, s0, v1
	s_and_saveexec_b64 s[2:3], vcc
	s_cbranch_execz .LBB16_22
; %bb.1:
	s_load_dwordx4 s[8:11], s[4:5], 0x10
	v_ashrrev_i32_e32 v2, 31, v1
	v_lshlrev_b64 v[1:2], 2, v[1:2]
	v_and_b32_e32 v0, 31, v0
	v_subrev_u32_e32 v5, s1, v0
	s_waitcnt lgkmcnt(0)
	v_mov_b32_e32 v4, s9
	v_add_co_u32_e32 v3, vcc, s8, v1
	v_addc_co_u32_e32 v4, vcc, v4, v2, vcc
	global_load_dwordx2 v[3:4], v[3:4], off
	v_mov_b32_e32 v8, 0
	s_waitcnt vmcnt(0)
	v_subrev_u32_e32 v0, s1, v4
	v_add_u32_e32 v3, v3, v5
	v_cmp_lt_i32_e32 vcc, v3, v0
	s_and_saveexec_b64 s[6:7], vcc
	s_cbranch_execz .LBB16_21
; %bb.2:
	s_load_dwordx2 s[0:1], s[4:5], 0x8
	s_load_dword s14, s[4:5], 0x20
	v_ashrrev_i32_e32 v4, 31, v3
	v_lshlrev_b64 v[4:5], 3, v[3:4]
	v_mov_b32_e32 v8, 0
	s_waitcnt lgkmcnt(0)
	v_mov_b32_e32 v6, s1
	v_add_co_u32_e32 v4, vcc, s0, v4
	v_addc_co_u32_e32 v5, vcc, v6, v5, vcc
	v_add_co_u32_e32 v4, vcc, 4, v4
	v_addc_co_u32_e32 v5, vcc, 0, v5, vcc
	s_mov_b64 s[4:5], 0
	s_mov_b32 s15, 0xf800000
	v_mov_b32_e32 v9, 0x260
	s_mov_b32 s16, 0x800000
	s_branch .LBB16_5
.LBB16_3:                               ;   in Loop: Header=BB16_5 Depth=1
	s_or_b64 exec, exec, s[0:1]
.LBB16_4:                               ;   in Loop: Header=BB16_5 Depth=1
	s_or_b64 exec, exec, s[2:3]
	v_add_u32_e32 v3, 32, v3
	v_add_co_u32_e32 v4, vcc, 0x100, v4
	v_cmp_ge_i32_e64 s[0:1], v3, v0
	s_or_b64 s[4:5], s[0:1], s[4:5]
	v_addc_co_u32_e32 v5, vcc, 0, v5, vcc
	s_andn2_b64 exec, exec, s[4:5]
	s_cbranch_execz .LBB16_20
.LBB16_5:                               ; =>This Inner Loop Header: Depth=1
	global_load_dwordx2 v[6:7], v[4:5], off offset:-4
                                        ; implicit-def: $vgpr11
	s_waitcnt vmcnt(0)
	v_cmp_gt_f32_e32 vcc, 0, v6
	v_cndmask_b32_e64 v6, v6, -v6, vcc
	v_cmp_gt_f32_e32 vcc, 0, v7
	v_cndmask_b32_e64 v10, v7, -v7, vcc
	v_cmp_ngt_f32_e64 s[0:1], v6, v10
	s_and_saveexec_b64 s[2:3], s[0:1]
	s_xor_b64 s[8:9], exec, s[2:3]
	s_cbranch_execnz .LBB16_8
; %bb.6:                                ;   in Loop: Header=BB16_5 Depth=1
	s_andn2_saveexec_b64 s[8:9], s[8:9]
	s_cbranch_execnz .LBB16_11
.LBB16_7:                               ;   in Loop: Header=BB16_5 Depth=1
	s_or_b64 exec, exec, s[8:9]
	v_cmp_lt_f32_e32 vcc, s14, v11
	s_and_saveexec_b64 s[2:3], vcc
	s_cbranch_execz .LBB16_4
	s_branch .LBB16_12
.LBB16_8:                               ;   in Loop: Header=BB16_5 Depth=1
	v_mov_b32_e32 v11, 0
	v_cmp_neq_f32_e32 vcc, 0, v7
	s_and_saveexec_b64 s[12:13], vcc
	s_cbranch_execz .LBB16_10
; %bb.9:                                ;   in Loop: Header=BB16_5 Depth=1
	v_div_scale_f32 v11, s[2:3], v10, v10, v6
	v_div_scale_f32 v12, vcc, v6, v10, v6
	v_rcp_f32_e32 v13, v11
	v_fma_f32 v14, -v11, v13, 1.0
	v_fmac_f32_e32 v13, v14, v13
	v_mul_f32_e32 v14, v12, v13
	v_fma_f32 v15, -v11, v14, v12
	v_fmac_f32_e32 v14, v15, v13
	v_fma_f32 v11, -v11, v14, v12
	v_div_fmas_f32 v11, v11, v13, v14
	v_div_fixup_f32 v11, v11, v10, v6
	v_fma_f32 v11, v11, v11, 1.0
	v_mul_f32_e32 v12, 0x4f800000, v11
	v_cmp_gt_f32_e32 vcc, s15, v11
	v_cndmask_b32_e32 v11, v11, v12, vcc
	v_sqrt_f32_e32 v12, v11
	v_add_u32_e32 v13, -1, v12
	v_add_u32_e32 v14, 1, v12
	v_fma_f32 v15, -v13, v12, v11
	v_fma_f32 v16, -v14, v12, v11
	v_cmp_ge_f32_e64 s[2:3], 0, v15
	v_cndmask_b32_e64 v12, v12, v13, s[2:3]
	v_cmp_lt_f32_e64 s[2:3], 0, v16
	v_cndmask_b32_e64 v12, v12, v14, s[2:3]
	v_mul_f32_e32 v13, 0x37800000, v12
	v_cndmask_b32_e32 v12, v12, v13, vcc
	v_cmp_class_f32_e32 vcc, v11, v9
	v_cndmask_b32_e32 v11, v12, v11, vcc
	v_mul_f32_e32 v11, v10, v11
.LBB16_10:                              ;   in Loop: Header=BB16_5 Depth=1
	s_or_b64 exec, exec, s[12:13]
	s_andn2_saveexec_b64 s[8:9], s[8:9]
	s_cbranch_execz .LBB16_7
.LBB16_11:                              ;   in Loop: Header=BB16_5 Depth=1
	v_div_scale_f32 v11, s[2:3], v6, v6, v10
	v_div_scale_f32 v12, vcc, v10, v6, v10
	v_rcp_f32_e32 v13, v11
	v_fma_f32 v14, -v11, v13, 1.0
	v_fmac_f32_e32 v13, v14, v13
	v_mul_f32_e32 v14, v12, v13
	v_fma_f32 v15, -v11, v14, v12
	v_fmac_f32_e32 v14, v15, v13
	v_fma_f32 v11, -v11, v14, v12
	v_div_fmas_f32 v11, v11, v13, v14
	v_div_fixup_f32 v11, v11, v6, v10
	v_fma_f32 v11, v11, v11, 1.0
	v_mul_f32_e32 v12, 0x4f800000, v11
	v_cmp_gt_f32_e32 vcc, s15, v11
	v_cndmask_b32_e32 v11, v11, v12, vcc
	v_sqrt_f32_e32 v12, v11
	v_add_u32_e32 v13, -1, v12
	v_add_u32_e32 v14, 1, v12
	v_fma_f32 v15, -v13, v12, v11
	v_fma_f32 v16, -v14, v12, v11
	v_cmp_ge_f32_e64 s[2:3], 0, v15
	v_cndmask_b32_e64 v12, v12, v13, s[2:3]
	v_cmp_lt_f32_e64 s[2:3], 0, v16
	v_cndmask_b32_e64 v12, v12, v14, s[2:3]
	v_mul_f32_e32 v13, 0x37800000, v12
	v_cndmask_b32_e32 v12, v12, v13, vcc
	v_cmp_class_f32_e32 vcc, v11, v9
	v_cndmask_b32_e32 v11, v12, v11, vcc
	v_mul_f32_e32 v11, v6, v11
	s_or_b64 exec, exec, s[8:9]
	v_cmp_lt_f32_e32 vcc, s14, v11
	s_and_saveexec_b64 s[2:3], vcc
	s_cbranch_execz .LBB16_4
.LBB16_12:                              ;   in Loop: Header=BB16_5 Depth=1
                                        ; implicit-def: $vgpr11
	s_and_saveexec_b64 s[8:9], s[0:1]
	s_xor_b64 s[8:9], exec, s[8:9]
	s_cbranch_execnz .LBB16_15
; %bb.13:                               ;   in Loop: Header=BB16_5 Depth=1
	s_andn2_saveexec_b64 s[8:9], s[8:9]
	s_cbranch_execnz .LBB16_18
.LBB16_14:                              ;   in Loop: Header=BB16_5 Depth=1
	s_or_b64 exec, exec, s[8:9]
	v_cmp_lt_f32_e32 vcc, s16, v11
	s_and_saveexec_b64 s[0:1], vcc
	s_cbranch_execz .LBB16_3
	s_branch .LBB16_19
.LBB16_15:                              ;   in Loop: Header=BB16_5 Depth=1
	v_mov_b32_e32 v11, 0
	v_cmp_neq_f32_e32 vcc, 0, v7
	s_and_saveexec_b64 s[12:13], vcc
	s_cbranch_execz .LBB16_17
; %bb.16:                               ;   in Loop: Header=BB16_5 Depth=1
	v_div_scale_f32 v7, s[0:1], v10, v10, v6
	v_div_scale_f32 v11, vcc, v6, v10, v6
	v_rcp_f32_e32 v12, v7
	v_fma_f32 v13, -v7, v12, 1.0
	v_fmac_f32_e32 v12, v13, v12
	v_mul_f32_e32 v13, v11, v12
	v_fma_f32 v14, -v7, v13, v11
	v_fmac_f32_e32 v13, v14, v12
	v_fma_f32 v7, -v7, v13, v11
	v_div_fmas_f32 v7, v7, v12, v13
	v_div_fixup_f32 v6, v7, v10, v6
	v_fma_f32 v6, v6, v6, 1.0
	v_mul_f32_e32 v7, 0x4f800000, v6
	v_cmp_gt_f32_e32 vcc, s15, v6
	v_cndmask_b32_e32 v6, v6, v7, vcc
	v_sqrt_f32_e32 v7, v6
	v_add_u32_e32 v11, -1, v7
	v_add_u32_e32 v12, 1, v7
	v_fma_f32 v13, -v11, v7, v6
	v_fma_f32 v14, -v12, v7, v6
	v_cmp_ge_f32_e64 s[0:1], 0, v13
	v_cndmask_b32_e64 v7, v7, v11, s[0:1]
	v_cmp_lt_f32_e64 s[0:1], 0, v14
	v_cndmask_b32_e64 v7, v7, v12, s[0:1]
	v_mul_f32_e32 v11, 0x37800000, v7
	v_cndmask_b32_e32 v7, v7, v11, vcc
	v_cmp_class_f32_e32 vcc, v6, v9
	v_cndmask_b32_e32 v6, v7, v6, vcc
	v_mul_f32_e32 v11, v10, v6
.LBB16_17:                              ;   in Loop: Header=BB16_5 Depth=1
	s_or_b64 exec, exec, s[12:13]
                                        ; implicit-def: $vgpr6
                                        ; implicit-def: $vgpr10
	s_andn2_saveexec_b64 s[8:9], s[8:9]
	s_cbranch_execz .LBB16_14
.LBB16_18:                              ;   in Loop: Header=BB16_5 Depth=1
	v_div_scale_f32 v7, s[0:1], v6, v6, v10
	v_div_scale_f32 v11, vcc, v10, v6, v10
	v_rcp_f32_e32 v12, v7
	v_fma_f32 v13, -v7, v12, 1.0
	v_fmac_f32_e32 v12, v13, v12
	v_mul_f32_e32 v13, v11, v12
	v_fma_f32 v14, -v7, v13, v11
	v_fmac_f32_e32 v13, v14, v12
	v_fma_f32 v7, -v7, v13, v11
	v_div_fmas_f32 v7, v7, v12, v13
	v_div_fixup_f32 v7, v7, v6, v10
	v_fma_f32 v7, v7, v7, 1.0
	v_mul_f32_e32 v10, 0x4f800000, v7
	v_cmp_gt_f32_e32 vcc, s15, v7
	v_cndmask_b32_e32 v7, v7, v10, vcc
	v_sqrt_f32_e32 v10, v7
	v_add_u32_e32 v11, -1, v10
	v_add_u32_e32 v12, 1, v10
	v_fma_f32 v13, -v11, v10, v7
	v_fma_f32 v14, -v12, v10, v7
	v_cmp_ge_f32_e64 s[0:1], 0, v13
	v_cndmask_b32_e64 v10, v10, v11, s[0:1]
	v_cmp_lt_f32_e64 s[0:1], 0, v14
	v_cndmask_b32_e64 v10, v10, v12, s[0:1]
	v_mul_f32_e32 v11, 0x37800000, v10
	v_cndmask_b32_e32 v10, v10, v11, vcc
	v_cmp_class_f32_e32 vcc, v7, v9
	v_cndmask_b32_e32 v7, v10, v7, vcc
	v_mul_f32_e32 v11, v6, v7
	s_or_b64 exec, exec, s[8:9]
	v_cmp_lt_f32_e32 vcc, s16, v11
	s_and_saveexec_b64 s[0:1], vcc
	s_cbranch_execz .LBB16_3
.LBB16_19:                              ;   in Loop: Header=BB16_5 Depth=1
	v_add_u32_e32 v8, 1, v8
	s_branch .LBB16_3
.LBB16_20:
	s_or_b64 exec, exec, s[4:5]
.LBB16_21:
	s_or_b64 exec, exec, s[6:7]
	v_mov_b32_dpp v0, v8 row_shr:1 row_mask:0xf bank_mask:0xf
	v_add_u32_e32 v0, v0, v8
	v_mov_b32_e32 v4, 0x7c
	s_nop 0
	v_mov_b32_dpp v3, v0 row_shr:2 row_mask:0xf bank_mask:0xf
	v_add_u32_e32 v0, v0, v3
	s_nop 1
	v_mov_b32_dpp v3, v0 row_shr:4 row_mask:0xf bank_mask:0xe
	v_add_u32_e32 v0, v0, v3
	;; [unrolled: 3-line block ×3, first 2 shown]
	s_nop 1
	v_mov_b32_dpp v3, v0 row_bcast:15 row_mask:0xa bank_mask:0xf
	v_add_u32_e32 v0, v0, v3
	v_mbcnt_lo_u32_b32 v3, -1, 0
	v_mbcnt_hi_u32_b32 v3, -1, v3
	v_lshl_or_b32 v3, v3, 2, v4
	ds_bpermute_b32 v3, v3, v0
	v_mov_b32_e32 v4, s11
	v_add_co_u32_e32 v0, vcc, s10, v1
	v_addc_co_u32_e32 v1, vcc, v4, v2, vcc
	s_waitcnt lgkmcnt(0)
	global_store_dword v[0:1], v3, off
.LBB16_22:
	s_endpgm
	.section	.rodata,"a",@progbits
	.p2align	6, 0x0
	.amdhsa_kernel _ZN9rocsparseL19nnz_compress_kernelILi1024ELi32ELi32E21rocsparse_complex_numIfEEEvi21rocsparse_index_base_PKT2_PKiPiS4_
		.amdhsa_group_segment_fixed_size 0
		.amdhsa_private_segment_fixed_size 0
		.amdhsa_kernarg_size 40
		.amdhsa_user_sgpr_count 6
		.amdhsa_user_sgpr_private_segment_buffer 1
		.amdhsa_user_sgpr_dispatch_ptr 0
		.amdhsa_user_sgpr_queue_ptr 0
		.amdhsa_user_sgpr_kernarg_segment_ptr 1
		.amdhsa_user_sgpr_dispatch_id 0
		.amdhsa_user_sgpr_flat_scratch_init 0
		.amdhsa_user_sgpr_private_segment_size 0
		.amdhsa_uses_dynamic_stack 0
		.amdhsa_system_sgpr_private_segment_wavefront_offset 0
		.amdhsa_system_sgpr_workgroup_id_x 1
		.amdhsa_system_sgpr_workgroup_id_y 0
		.amdhsa_system_sgpr_workgroup_id_z 0
		.amdhsa_system_sgpr_workgroup_info 0
		.amdhsa_system_vgpr_workitem_id 0
		.amdhsa_next_free_vgpr 17
		.amdhsa_next_free_sgpr 17
		.amdhsa_reserve_vcc 1
		.amdhsa_reserve_flat_scratch 0
		.amdhsa_float_round_mode_32 0
		.amdhsa_float_round_mode_16_64 0
		.amdhsa_float_denorm_mode_32 3
		.amdhsa_float_denorm_mode_16_64 3
		.amdhsa_dx10_clamp 1
		.amdhsa_ieee_mode 1
		.amdhsa_fp16_overflow 0
		.amdhsa_exception_fp_ieee_invalid_op 0
		.amdhsa_exception_fp_denorm_src 0
		.amdhsa_exception_fp_ieee_div_zero 0
		.amdhsa_exception_fp_ieee_overflow 0
		.amdhsa_exception_fp_ieee_underflow 0
		.amdhsa_exception_fp_ieee_inexact 0
		.amdhsa_exception_int_div_zero 0
	.end_amdhsa_kernel
	.section	.text._ZN9rocsparseL19nnz_compress_kernelILi1024ELi32ELi32E21rocsparse_complex_numIfEEEvi21rocsparse_index_base_PKT2_PKiPiS4_,"axG",@progbits,_ZN9rocsparseL19nnz_compress_kernelILi1024ELi32ELi32E21rocsparse_complex_numIfEEEvi21rocsparse_index_base_PKT2_PKiPiS4_,comdat
.Lfunc_end16:
	.size	_ZN9rocsparseL19nnz_compress_kernelILi1024ELi32ELi32E21rocsparse_complex_numIfEEEvi21rocsparse_index_base_PKT2_PKiPiS4_, .Lfunc_end16-_ZN9rocsparseL19nnz_compress_kernelILi1024ELi32ELi32E21rocsparse_complex_numIfEEEvi21rocsparse_index_base_PKT2_PKiPiS4_
                                        ; -- End function
	.set _ZN9rocsparseL19nnz_compress_kernelILi1024ELi32ELi32E21rocsparse_complex_numIfEEEvi21rocsparse_index_base_PKT2_PKiPiS4_.num_vgpr, 17
	.set _ZN9rocsparseL19nnz_compress_kernelILi1024ELi32ELi32E21rocsparse_complex_numIfEEEvi21rocsparse_index_base_PKT2_PKiPiS4_.num_agpr, 0
	.set _ZN9rocsparseL19nnz_compress_kernelILi1024ELi32ELi32E21rocsparse_complex_numIfEEEvi21rocsparse_index_base_PKT2_PKiPiS4_.numbered_sgpr, 17
	.set _ZN9rocsparseL19nnz_compress_kernelILi1024ELi32ELi32E21rocsparse_complex_numIfEEEvi21rocsparse_index_base_PKT2_PKiPiS4_.num_named_barrier, 0
	.set _ZN9rocsparseL19nnz_compress_kernelILi1024ELi32ELi32E21rocsparse_complex_numIfEEEvi21rocsparse_index_base_PKT2_PKiPiS4_.private_seg_size, 0
	.set _ZN9rocsparseL19nnz_compress_kernelILi1024ELi32ELi32E21rocsparse_complex_numIfEEEvi21rocsparse_index_base_PKT2_PKiPiS4_.uses_vcc, 1
	.set _ZN9rocsparseL19nnz_compress_kernelILi1024ELi32ELi32E21rocsparse_complex_numIfEEEvi21rocsparse_index_base_PKT2_PKiPiS4_.uses_flat_scratch, 0
	.set _ZN9rocsparseL19nnz_compress_kernelILi1024ELi32ELi32E21rocsparse_complex_numIfEEEvi21rocsparse_index_base_PKT2_PKiPiS4_.has_dyn_sized_stack, 0
	.set _ZN9rocsparseL19nnz_compress_kernelILi1024ELi32ELi32E21rocsparse_complex_numIfEEEvi21rocsparse_index_base_PKT2_PKiPiS4_.has_recursion, 0
	.set _ZN9rocsparseL19nnz_compress_kernelILi1024ELi32ELi32E21rocsparse_complex_numIfEEEvi21rocsparse_index_base_PKT2_PKiPiS4_.has_indirect_call, 0
	.section	.AMDGPU.csdata,"",@progbits
; Kernel info:
; codeLenInByte = 1340
; TotalNumSgprs: 21
; NumVgprs: 17
; ScratchSize: 0
; MemoryBound: 0
; FloatMode: 240
; IeeeMode: 1
; LDSByteSize: 0 bytes/workgroup (compile time only)
; SGPRBlocks: 2
; VGPRBlocks: 4
; NumSGPRsForWavesPerEU: 21
; NumVGPRsForWavesPerEU: 17
; Occupancy: 10
; WaveLimiterHint : 0
; COMPUTE_PGM_RSRC2:SCRATCH_EN: 0
; COMPUTE_PGM_RSRC2:USER_SGPR: 6
; COMPUTE_PGM_RSRC2:TRAP_HANDLER: 0
; COMPUTE_PGM_RSRC2:TGID_X_EN: 1
; COMPUTE_PGM_RSRC2:TGID_Y_EN: 0
; COMPUTE_PGM_RSRC2:TGID_Z_EN: 0
; COMPUTE_PGM_RSRC2:TIDIG_COMP_CNT: 0
	.section	.text._ZN9rocsparseL19nnz_compress_kernelILi1024ELi16ELi64E21rocsparse_complex_numIfEEEvi21rocsparse_index_base_PKT2_PKiPiS4_,"axG",@progbits,_ZN9rocsparseL19nnz_compress_kernelILi1024ELi16ELi64E21rocsparse_complex_numIfEEEvi21rocsparse_index_base_PKT2_PKiPiS4_,comdat
	.globl	_ZN9rocsparseL19nnz_compress_kernelILi1024ELi16ELi64E21rocsparse_complex_numIfEEEvi21rocsparse_index_base_PKT2_PKiPiS4_ ; -- Begin function _ZN9rocsparseL19nnz_compress_kernelILi1024ELi16ELi64E21rocsparse_complex_numIfEEEvi21rocsparse_index_base_PKT2_PKiPiS4_
	.p2align	8
	.type	_ZN9rocsparseL19nnz_compress_kernelILi1024ELi16ELi64E21rocsparse_complex_numIfEEEvi21rocsparse_index_base_PKT2_PKiPiS4_,@function
_ZN9rocsparseL19nnz_compress_kernelILi1024ELi16ELi64E21rocsparse_complex_numIfEEEvi21rocsparse_index_base_PKT2_PKiPiS4_: ; @_ZN9rocsparseL19nnz_compress_kernelILi1024ELi16ELi64E21rocsparse_complex_numIfEEEvi21rocsparse_index_base_PKT2_PKiPiS4_
; %bb.0:
	s_load_dwordx2 s[0:1], s[4:5], 0x0
	v_lshrrev_b32_e32 v1, 6, v0
	v_lshl_or_b32 v1, s6, 4, v1
	s_waitcnt lgkmcnt(0)
	v_cmp_gt_i32_e32 vcc, s0, v1
	s_and_saveexec_b64 s[2:3], vcc
	s_cbranch_execz .LBB17_22
; %bb.1:
	s_load_dwordx4 s[8:11], s[4:5], 0x10
	v_ashrrev_i32_e32 v2, 31, v1
	v_lshlrev_b64 v[1:2], 2, v[1:2]
	v_and_b32_e32 v0, 63, v0
	v_subrev_u32_e32 v5, s1, v0
	s_waitcnt lgkmcnt(0)
	v_mov_b32_e32 v4, s9
	v_add_co_u32_e32 v3, vcc, s8, v1
	v_addc_co_u32_e32 v4, vcc, v4, v2, vcc
	global_load_dwordx2 v[3:4], v[3:4], off
	v_mov_b32_e32 v8, 0
	s_waitcnt vmcnt(0)
	v_subrev_u32_e32 v0, s1, v4
	v_add_u32_e32 v3, v3, v5
	v_cmp_lt_i32_e32 vcc, v3, v0
	s_and_saveexec_b64 s[6:7], vcc
	s_cbranch_execz .LBB17_21
; %bb.2:
	s_load_dwordx2 s[0:1], s[4:5], 0x8
	s_load_dword s14, s[4:5], 0x20
	v_ashrrev_i32_e32 v4, 31, v3
	v_lshlrev_b64 v[4:5], 3, v[3:4]
	v_mov_b32_e32 v8, 0
	s_waitcnt lgkmcnt(0)
	v_mov_b32_e32 v6, s1
	v_add_co_u32_e32 v4, vcc, s0, v4
	v_addc_co_u32_e32 v5, vcc, v6, v5, vcc
	v_add_co_u32_e32 v4, vcc, 4, v4
	v_addc_co_u32_e32 v5, vcc, 0, v5, vcc
	s_mov_b64 s[4:5], 0
	s_mov_b32 s15, 0xf800000
	v_mov_b32_e32 v9, 0x260
	s_mov_b32 s16, 0x800000
	s_branch .LBB17_5
.LBB17_3:                               ;   in Loop: Header=BB17_5 Depth=1
	s_or_b64 exec, exec, s[0:1]
.LBB17_4:                               ;   in Loop: Header=BB17_5 Depth=1
	s_or_b64 exec, exec, s[2:3]
	v_add_u32_e32 v3, 64, v3
	v_add_co_u32_e32 v4, vcc, 0x200, v4
	v_cmp_ge_i32_e64 s[0:1], v3, v0
	s_or_b64 s[4:5], s[0:1], s[4:5]
	v_addc_co_u32_e32 v5, vcc, 0, v5, vcc
	s_andn2_b64 exec, exec, s[4:5]
	s_cbranch_execz .LBB17_20
.LBB17_5:                               ; =>This Inner Loop Header: Depth=1
	global_load_dwordx2 v[6:7], v[4:5], off offset:-4
                                        ; implicit-def: $vgpr11
	s_waitcnt vmcnt(0)
	v_cmp_gt_f32_e32 vcc, 0, v6
	v_cndmask_b32_e64 v6, v6, -v6, vcc
	v_cmp_gt_f32_e32 vcc, 0, v7
	v_cndmask_b32_e64 v10, v7, -v7, vcc
	v_cmp_ngt_f32_e64 s[0:1], v6, v10
	s_and_saveexec_b64 s[2:3], s[0:1]
	s_xor_b64 s[8:9], exec, s[2:3]
	s_cbranch_execnz .LBB17_8
; %bb.6:                                ;   in Loop: Header=BB17_5 Depth=1
	s_andn2_saveexec_b64 s[8:9], s[8:9]
	s_cbranch_execnz .LBB17_11
.LBB17_7:                               ;   in Loop: Header=BB17_5 Depth=1
	s_or_b64 exec, exec, s[8:9]
	v_cmp_lt_f32_e32 vcc, s14, v11
	s_and_saveexec_b64 s[2:3], vcc
	s_cbranch_execz .LBB17_4
	s_branch .LBB17_12
.LBB17_8:                               ;   in Loop: Header=BB17_5 Depth=1
	v_mov_b32_e32 v11, 0
	v_cmp_neq_f32_e32 vcc, 0, v7
	s_and_saveexec_b64 s[12:13], vcc
	s_cbranch_execz .LBB17_10
; %bb.9:                                ;   in Loop: Header=BB17_5 Depth=1
	v_div_scale_f32 v11, s[2:3], v10, v10, v6
	v_div_scale_f32 v12, vcc, v6, v10, v6
	v_rcp_f32_e32 v13, v11
	v_fma_f32 v14, -v11, v13, 1.0
	v_fmac_f32_e32 v13, v14, v13
	v_mul_f32_e32 v14, v12, v13
	v_fma_f32 v15, -v11, v14, v12
	v_fmac_f32_e32 v14, v15, v13
	v_fma_f32 v11, -v11, v14, v12
	v_div_fmas_f32 v11, v11, v13, v14
	v_div_fixup_f32 v11, v11, v10, v6
	v_fma_f32 v11, v11, v11, 1.0
	v_mul_f32_e32 v12, 0x4f800000, v11
	v_cmp_gt_f32_e32 vcc, s15, v11
	v_cndmask_b32_e32 v11, v11, v12, vcc
	v_sqrt_f32_e32 v12, v11
	v_add_u32_e32 v13, -1, v12
	v_add_u32_e32 v14, 1, v12
	v_fma_f32 v15, -v13, v12, v11
	v_fma_f32 v16, -v14, v12, v11
	v_cmp_ge_f32_e64 s[2:3], 0, v15
	v_cndmask_b32_e64 v12, v12, v13, s[2:3]
	v_cmp_lt_f32_e64 s[2:3], 0, v16
	v_cndmask_b32_e64 v12, v12, v14, s[2:3]
	v_mul_f32_e32 v13, 0x37800000, v12
	v_cndmask_b32_e32 v12, v12, v13, vcc
	v_cmp_class_f32_e32 vcc, v11, v9
	v_cndmask_b32_e32 v11, v12, v11, vcc
	v_mul_f32_e32 v11, v10, v11
.LBB17_10:                              ;   in Loop: Header=BB17_5 Depth=1
	s_or_b64 exec, exec, s[12:13]
	s_andn2_saveexec_b64 s[8:9], s[8:9]
	s_cbranch_execz .LBB17_7
.LBB17_11:                              ;   in Loop: Header=BB17_5 Depth=1
	v_div_scale_f32 v11, s[2:3], v6, v6, v10
	v_div_scale_f32 v12, vcc, v10, v6, v10
	v_rcp_f32_e32 v13, v11
	v_fma_f32 v14, -v11, v13, 1.0
	v_fmac_f32_e32 v13, v14, v13
	v_mul_f32_e32 v14, v12, v13
	v_fma_f32 v15, -v11, v14, v12
	v_fmac_f32_e32 v14, v15, v13
	v_fma_f32 v11, -v11, v14, v12
	v_div_fmas_f32 v11, v11, v13, v14
	v_div_fixup_f32 v11, v11, v6, v10
	v_fma_f32 v11, v11, v11, 1.0
	v_mul_f32_e32 v12, 0x4f800000, v11
	v_cmp_gt_f32_e32 vcc, s15, v11
	v_cndmask_b32_e32 v11, v11, v12, vcc
	v_sqrt_f32_e32 v12, v11
	v_add_u32_e32 v13, -1, v12
	v_add_u32_e32 v14, 1, v12
	v_fma_f32 v15, -v13, v12, v11
	v_fma_f32 v16, -v14, v12, v11
	v_cmp_ge_f32_e64 s[2:3], 0, v15
	v_cndmask_b32_e64 v12, v12, v13, s[2:3]
	v_cmp_lt_f32_e64 s[2:3], 0, v16
	v_cndmask_b32_e64 v12, v12, v14, s[2:3]
	v_mul_f32_e32 v13, 0x37800000, v12
	v_cndmask_b32_e32 v12, v12, v13, vcc
	v_cmp_class_f32_e32 vcc, v11, v9
	v_cndmask_b32_e32 v11, v12, v11, vcc
	v_mul_f32_e32 v11, v6, v11
	s_or_b64 exec, exec, s[8:9]
	v_cmp_lt_f32_e32 vcc, s14, v11
	s_and_saveexec_b64 s[2:3], vcc
	s_cbranch_execz .LBB17_4
.LBB17_12:                              ;   in Loop: Header=BB17_5 Depth=1
                                        ; implicit-def: $vgpr11
	s_and_saveexec_b64 s[8:9], s[0:1]
	s_xor_b64 s[8:9], exec, s[8:9]
	s_cbranch_execnz .LBB17_15
; %bb.13:                               ;   in Loop: Header=BB17_5 Depth=1
	s_andn2_saveexec_b64 s[8:9], s[8:9]
	s_cbranch_execnz .LBB17_18
.LBB17_14:                              ;   in Loop: Header=BB17_5 Depth=1
	s_or_b64 exec, exec, s[8:9]
	v_cmp_lt_f32_e32 vcc, s16, v11
	s_and_saveexec_b64 s[0:1], vcc
	s_cbranch_execz .LBB17_3
	s_branch .LBB17_19
.LBB17_15:                              ;   in Loop: Header=BB17_5 Depth=1
	v_mov_b32_e32 v11, 0
	v_cmp_neq_f32_e32 vcc, 0, v7
	s_and_saveexec_b64 s[12:13], vcc
	s_cbranch_execz .LBB17_17
; %bb.16:                               ;   in Loop: Header=BB17_5 Depth=1
	v_div_scale_f32 v7, s[0:1], v10, v10, v6
	v_div_scale_f32 v11, vcc, v6, v10, v6
	v_rcp_f32_e32 v12, v7
	v_fma_f32 v13, -v7, v12, 1.0
	v_fmac_f32_e32 v12, v13, v12
	v_mul_f32_e32 v13, v11, v12
	v_fma_f32 v14, -v7, v13, v11
	v_fmac_f32_e32 v13, v14, v12
	v_fma_f32 v7, -v7, v13, v11
	v_div_fmas_f32 v7, v7, v12, v13
	v_div_fixup_f32 v6, v7, v10, v6
	v_fma_f32 v6, v6, v6, 1.0
	v_mul_f32_e32 v7, 0x4f800000, v6
	v_cmp_gt_f32_e32 vcc, s15, v6
	v_cndmask_b32_e32 v6, v6, v7, vcc
	v_sqrt_f32_e32 v7, v6
	v_add_u32_e32 v11, -1, v7
	v_add_u32_e32 v12, 1, v7
	v_fma_f32 v13, -v11, v7, v6
	v_fma_f32 v14, -v12, v7, v6
	v_cmp_ge_f32_e64 s[0:1], 0, v13
	v_cndmask_b32_e64 v7, v7, v11, s[0:1]
	v_cmp_lt_f32_e64 s[0:1], 0, v14
	v_cndmask_b32_e64 v7, v7, v12, s[0:1]
	v_mul_f32_e32 v11, 0x37800000, v7
	v_cndmask_b32_e32 v7, v7, v11, vcc
	v_cmp_class_f32_e32 vcc, v6, v9
	v_cndmask_b32_e32 v6, v7, v6, vcc
	v_mul_f32_e32 v11, v10, v6
.LBB17_17:                              ;   in Loop: Header=BB17_5 Depth=1
	s_or_b64 exec, exec, s[12:13]
                                        ; implicit-def: $vgpr6
                                        ; implicit-def: $vgpr10
	s_andn2_saveexec_b64 s[8:9], s[8:9]
	s_cbranch_execz .LBB17_14
.LBB17_18:                              ;   in Loop: Header=BB17_5 Depth=1
	v_div_scale_f32 v7, s[0:1], v6, v6, v10
	v_div_scale_f32 v11, vcc, v10, v6, v10
	v_rcp_f32_e32 v12, v7
	v_fma_f32 v13, -v7, v12, 1.0
	v_fmac_f32_e32 v12, v13, v12
	v_mul_f32_e32 v13, v11, v12
	v_fma_f32 v14, -v7, v13, v11
	v_fmac_f32_e32 v13, v14, v12
	v_fma_f32 v7, -v7, v13, v11
	v_div_fmas_f32 v7, v7, v12, v13
	v_div_fixup_f32 v7, v7, v6, v10
	v_fma_f32 v7, v7, v7, 1.0
	v_mul_f32_e32 v10, 0x4f800000, v7
	v_cmp_gt_f32_e32 vcc, s15, v7
	v_cndmask_b32_e32 v7, v7, v10, vcc
	v_sqrt_f32_e32 v10, v7
	v_add_u32_e32 v11, -1, v10
	v_add_u32_e32 v12, 1, v10
	v_fma_f32 v13, -v11, v10, v7
	v_fma_f32 v14, -v12, v10, v7
	v_cmp_ge_f32_e64 s[0:1], 0, v13
	v_cndmask_b32_e64 v10, v10, v11, s[0:1]
	v_cmp_lt_f32_e64 s[0:1], 0, v14
	v_cndmask_b32_e64 v10, v10, v12, s[0:1]
	v_mul_f32_e32 v11, 0x37800000, v10
	v_cndmask_b32_e32 v10, v10, v11, vcc
	v_cmp_class_f32_e32 vcc, v7, v9
	v_cndmask_b32_e32 v7, v10, v7, vcc
	v_mul_f32_e32 v11, v6, v7
	s_or_b64 exec, exec, s[8:9]
	v_cmp_lt_f32_e32 vcc, s16, v11
	s_and_saveexec_b64 s[0:1], vcc
	s_cbranch_execz .LBB17_3
.LBB17_19:                              ;   in Loop: Header=BB17_5 Depth=1
	v_add_u32_e32 v8, 1, v8
	s_branch .LBB17_3
.LBB17_20:
	s_or_b64 exec, exec, s[4:5]
.LBB17_21:
	s_or_b64 exec, exec, s[6:7]
	v_mov_b32_dpp v0, v8 row_shr:1 row_mask:0xf bank_mask:0xf
	v_add_u32_e32 v0, v0, v8
	v_bfrev_b32_e32 v4, 0.5
	s_nop 0
	v_mov_b32_dpp v3, v0 row_shr:2 row_mask:0xf bank_mask:0xf
	v_add_u32_e32 v0, v0, v3
	s_nop 1
	v_mov_b32_dpp v3, v0 row_shr:4 row_mask:0xf bank_mask:0xe
	v_add_u32_e32 v0, v0, v3
	;; [unrolled: 3-line block ×3, first 2 shown]
	s_nop 1
	v_mov_b32_dpp v3, v0 row_bcast:15 row_mask:0xa bank_mask:0xf
	v_add_u32_e32 v0, v0, v3
	s_nop 1
	v_mov_b32_dpp v3, v0 row_bcast:31 row_mask:0xc bank_mask:0xf
	v_add_u32_e32 v0, v0, v3
	v_mbcnt_lo_u32_b32 v3, -1, 0
	v_mbcnt_hi_u32_b32 v3, -1, v3
	v_lshl_or_b32 v3, v3, 2, v4
	ds_bpermute_b32 v3, v3, v0
	v_mov_b32_e32 v4, s11
	v_add_co_u32_e32 v0, vcc, s10, v1
	v_addc_co_u32_e32 v1, vcc, v4, v2, vcc
	s_waitcnt lgkmcnt(0)
	global_store_dword v[0:1], v3, off
.LBB17_22:
	s_endpgm
	.section	.rodata,"a",@progbits
	.p2align	6, 0x0
	.amdhsa_kernel _ZN9rocsparseL19nnz_compress_kernelILi1024ELi16ELi64E21rocsparse_complex_numIfEEEvi21rocsparse_index_base_PKT2_PKiPiS4_
		.amdhsa_group_segment_fixed_size 0
		.amdhsa_private_segment_fixed_size 0
		.amdhsa_kernarg_size 40
		.amdhsa_user_sgpr_count 6
		.amdhsa_user_sgpr_private_segment_buffer 1
		.amdhsa_user_sgpr_dispatch_ptr 0
		.amdhsa_user_sgpr_queue_ptr 0
		.amdhsa_user_sgpr_kernarg_segment_ptr 1
		.amdhsa_user_sgpr_dispatch_id 0
		.amdhsa_user_sgpr_flat_scratch_init 0
		.amdhsa_user_sgpr_private_segment_size 0
		.amdhsa_uses_dynamic_stack 0
		.amdhsa_system_sgpr_private_segment_wavefront_offset 0
		.amdhsa_system_sgpr_workgroup_id_x 1
		.amdhsa_system_sgpr_workgroup_id_y 0
		.amdhsa_system_sgpr_workgroup_id_z 0
		.amdhsa_system_sgpr_workgroup_info 0
		.amdhsa_system_vgpr_workitem_id 0
		.amdhsa_next_free_vgpr 17
		.amdhsa_next_free_sgpr 17
		.amdhsa_reserve_vcc 1
		.amdhsa_reserve_flat_scratch 0
		.amdhsa_float_round_mode_32 0
		.amdhsa_float_round_mode_16_64 0
		.amdhsa_float_denorm_mode_32 3
		.amdhsa_float_denorm_mode_16_64 3
		.amdhsa_dx10_clamp 1
		.amdhsa_ieee_mode 1
		.amdhsa_fp16_overflow 0
		.amdhsa_exception_fp_ieee_invalid_op 0
		.amdhsa_exception_fp_denorm_src 0
		.amdhsa_exception_fp_ieee_div_zero 0
		.amdhsa_exception_fp_ieee_overflow 0
		.amdhsa_exception_fp_ieee_underflow 0
		.amdhsa_exception_fp_ieee_inexact 0
		.amdhsa_exception_int_div_zero 0
	.end_amdhsa_kernel
	.section	.text._ZN9rocsparseL19nnz_compress_kernelILi1024ELi16ELi64E21rocsparse_complex_numIfEEEvi21rocsparse_index_base_PKT2_PKiPiS4_,"axG",@progbits,_ZN9rocsparseL19nnz_compress_kernelILi1024ELi16ELi64E21rocsparse_complex_numIfEEEvi21rocsparse_index_base_PKT2_PKiPiS4_,comdat
.Lfunc_end17:
	.size	_ZN9rocsparseL19nnz_compress_kernelILi1024ELi16ELi64E21rocsparse_complex_numIfEEEvi21rocsparse_index_base_PKT2_PKiPiS4_, .Lfunc_end17-_ZN9rocsparseL19nnz_compress_kernelILi1024ELi16ELi64E21rocsparse_complex_numIfEEEvi21rocsparse_index_base_PKT2_PKiPiS4_
                                        ; -- End function
	.set _ZN9rocsparseL19nnz_compress_kernelILi1024ELi16ELi64E21rocsparse_complex_numIfEEEvi21rocsparse_index_base_PKT2_PKiPiS4_.num_vgpr, 17
	.set _ZN9rocsparseL19nnz_compress_kernelILi1024ELi16ELi64E21rocsparse_complex_numIfEEEvi21rocsparse_index_base_PKT2_PKiPiS4_.num_agpr, 0
	.set _ZN9rocsparseL19nnz_compress_kernelILi1024ELi16ELi64E21rocsparse_complex_numIfEEEvi21rocsparse_index_base_PKT2_PKiPiS4_.numbered_sgpr, 17
	.set _ZN9rocsparseL19nnz_compress_kernelILi1024ELi16ELi64E21rocsparse_complex_numIfEEEvi21rocsparse_index_base_PKT2_PKiPiS4_.num_named_barrier, 0
	.set _ZN9rocsparseL19nnz_compress_kernelILi1024ELi16ELi64E21rocsparse_complex_numIfEEEvi21rocsparse_index_base_PKT2_PKiPiS4_.private_seg_size, 0
	.set _ZN9rocsparseL19nnz_compress_kernelILi1024ELi16ELi64E21rocsparse_complex_numIfEEEvi21rocsparse_index_base_PKT2_PKiPiS4_.uses_vcc, 1
	.set _ZN9rocsparseL19nnz_compress_kernelILi1024ELi16ELi64E21rocsparse_complex_numIfEEEvi21rocsparse_index_base_PKT2_PKiPiS4_.uses_flat_scratch, 0
	.set _ZN9rocsparseL19nnz_compress_kernelILi1024ELi16ELi64E21rocsparse_complex_numIfEEEvi21rocsparse_index_base_PKT2_PKiPiS4_.has_dyn_sized_stack, 0
	.set _ZN9rocsparseL19nnz_compress_kernelILi1024ELi16ELi64E21rocsparse_complex_numIfEEEvi21rocsparse_index_base_PKT2_PKiPiS4_.has_recursion, 0
	.set _ZN9rocsparseL19nnz_compress_kernelILi1024ELi16ELi64E21rocsparse_complex_numIfEEEvi21rocsparse_index_base_PKT2_PKiPiS4_.has_indirect_call, 0
	.section	.AMDGPU.csdata,"",@progbits
; Kernel info:
; codeLenInByte = 1352
; TotalNumSgprs: 21
; NumVgprs: 17
; ScratchSize: 0
; MemoryBound: 0
; FloatMode: 240
; IeeeMode: 1
; LDSByteSize: 0 bytes/workgroup (compile time only)
; SGPRBlocks: 2
; VGPRBlocks: 4
; NumSGPRsForWavesPerEU: 21
; NumVGPRsForWavesPerEU: 17
; Occupancy: 10
; WaveLimiterHint : 0
; COMPUTE_PGM_RSRC2:SCRATCH_EN: 0
; COMPUTE_PGM_RSRC2:USER_SGPR: 6
; COMPUTE_PGM_RSRC2:TRAP_HANDLER: 0
; COMPUTE_PGM_RSRC2:TGID_X_EN: 1
; COMPUTE_PGM_RSRC2:TGID_Y_EN: 0
; COMPUTE_PGM_RSRC2:TGID_Z_EN: 0
; COMPUTE_PGM_RSRC2:TIDIG_COMP_CNT: 0
	.section	.text._ZN9rocsparseL19nnz_compress_kernelILi1024ELi512ELi2E21rocsparse_complex_numIdEEEvi21rocsparse_index_base_PKT2_PKiPiS4_,"axG",@progbits,_ZN9rocsparseL19nnz_compress_kernelILi1024ELi512ELi2E21rocsparse_complex_numIdEEEvi21rocsparse_index_base_PKT2_PKiPiS4_,comdat
	.globl	_ZN9rocsparseL19nnz_compress_kernelILi1024ELi512ELi2E21rocsparse_complex_numIdEEEvi21rocsparse_index_base_PKT2_PKiPiS4_ ; -- Begin function _ZN9rocsparseL19nnz_compress_kernelILi1024ELi512ELi2E21rocsparse_complex_numIdEEEvi21rocsparse_index_base_PKT2_PKiPiS4_
	.p2align	8
	.type	_ZN9rocsparseL19nnz_compress_kernelILi1024ELi512ELi2E21rocsparse_complex_numIdEEEvi21rocsparse_index_base_PKT2_PKiPiS4_,@function
_ZN9rocsparseL19nnz_compress_kernelILi1024ELi512ELi2E21rocsparse_complex_numIdEEEvi21rocsparse_index_base_PKT2_PKiPiS4_: ; @_ZN9rocsparseL19nnz_compress_kernelILi1024ELi512ELi2E21rocsparse_complex_numIdEEEvi21rocsparse_index_base_PKT2_PKiPiS4_
; %bb.0:
	s_load_dwordx2 s[8:9], s[4:5], 0x0
	v_lshrrev_b32_e32 v1, 1, v0
	v_lshl_or_b32 v1, s6, 9, v1
	s_waitcnt lgkmcnt(0)
	v_cmp_gt_i32_e32 vcc, s8, v1
	s_and_saveexec_b64 s[0:1], vcc
	s_cbranch_execz .LBB18_22
; %bb.1:
	s_load_dwordx4 s[0:3], s[4:5], 0x10
	v_ashrrev_i32_e32 v2, 31, v1
	v_lshlrev_b64 v[4:5], 2, v[1:2]
	v_and_b32_e32 v0, 1, v0
	v_subrev_u32_e32 v0, s9, v0
	s_waitcnt lgkmcnt(0)
	v_mov_b32_e32 v2, s1
	v_add_co_u32_e32 v1, vcc, s0, v4
	v_addc_co_u32_e32 v2, vcc, v2, v5, vcc
	global_load_dwordx2 v[1:2], v[1:2], off
	v_mov_b32_e32 v14, 0
	s_waitcnt vmcnt(0)
	v_subrev_u32_e32 v13, s9, v2
	v_add_u32_e32 v6, v1, v0
	v_cmp_lt_i32_e32 vcc, v6, v13
	s_and_saveexec_b64 s[6:7], vcc
	s_cbranch_execz .LBB18_21
; %bb.2:
	s_load_dwordx2 s[0:1], s[4:5], 0x8
	s_load_dwordx2 s[8:9], s[4:5], 0x20
	v_ashrrev_i32_e32 v7, 31, v6
	v_lshlrev_b64 v[0:1], 4, v[6:7]
	s_mov_b32 s10, 0
	s_waitcnt lgkmcnt(0)
	v_mov_b32_e32 v2, s1
	v_add_co_u32_e32 v0, vcc, s0, v0
	v_addc_co_u32_e32 v1, vcc, v2, v1, vcc
	v_add_co_u32_e32 v7, vcc, 8, v0
	s_mov_b32 s12, 0
	v_addc_co_u32_e32 v8, vcc, 0, v1, vcc
	v_mov_b32_e32 v14, 0
	s_mov_b64 s[4:5], 0
	s_brev_b32 s11, 8
	v_mov_b32_e32 v15, 0x260
	s_mov_b32 s13, 0x38100000
	v_mov_b32_e32 v16, 0x100
	v_mov_b32_e32 v17, 0xffffff80
	s_branch .LBB18_5
.LBB18_3:                               ;   in Loop: Header=BB18_5 Depth=1
	s_or_b64 exec, exec, s[0:1]
.LBB18_4:                               ;   in Loop: Header=BB18_5 Depth=1
	s_or_b64 exec, exec, s[14:15]
	v_add_u32_e32 v6, 2, v6
	v_cmp_ge_i32_e32 vcc, v6, v13
	s_or_b64 s[4:5], vcc, s[4:5]
	v_add_co_u32_e32 v7, vcc, 32, v7
	v_addc_co_u32_e32 v8, vcc, 0, v8, vcc
	s_andn2_b64 exec, exec, s[4:5]
	s_cbranch_execz .LBB18_20
.LBB18_5:                               ; =>This Inner Loop Header: Depth=1
	global_load_dwordx4 v[0:3], v[7:8], off offset:-8
                                        ; implicit-def: $vgpr11_vgpr12
	s_waitcnt vmcnt(0)
	v_cmp_gt_f64_e32 vcc, 0, v[0:1]
	v_xor_b32_e32 v9, 0x80000000, v1
	v_xor_b32_e32 v10, 0x80000000, v3
	v_cndmask_b32_e32 v1, v1, v9, vcc
	v_cmp_gt_f64_e32 vcc, 0, v[2:3]
	v_mov_b32_e32 v9, v2
	v_cndmask_b32_e32 v10, v3, v10, vcc
	v_cmp_ngt_f64_e64 s[0:1], v[0:1], v[9:10]
	s_and_saveexec_b64 s[14:15], s[0:1]
	s_xor_b64 s[14:15], exec, s[14:15]
	s_cbranch_execnz .LBB18_8
; %bb.6:                                ;   in Loop: Header=BB18_5 Depth=1
	s_andn2_saveexec_b64 s[14:15], s[14:15]
	s_cbranch_execnz .LBB18_11
.LBB18_7:                               ;   in Loop: Header=BB18_5 Depth=1
	s_or_b64 exec, exec, s[14:15]
	v_cmp_lt_f64_e32 vcc, s[8:9], v[11:12]
	s_and_saveexec_b64 s[14:15], vcc
	s_cbranch_execz .LBB18_4
	s_branch .LBB18_12
.LBB18_8:                               ;   in Loop: Header=BB18_5 Depth=1
	v_cmp_neq_f64_e32 vcc, 0, v[2:3]
	v_mov_b32_e32 v11, 0
	v_mov_b32_e32 v12, 0
	s_and_saveexec_b64 s[16:17], vcc
	s_cbranch_execz .LBB18_10
; %bb.9:                                ;   in Loop: Header=BB18_5 Depth=1
	v_div_scale_f64 v[11:12], s[18:19], v[9:10], v[9:10], v[0:1]
	v_rcp_f64_e32 v[18:19], v[11:12]
	v_fma_f64 v[20:21], -v[11:12], v[18:19], 1.0
	v_fma_f64 v[18:19], v[18:19], v[20:21], v[18:19]
	v_div_scale_f64 v[20:21], vcc, v[0:1], v[9:10], v[0:1]
	v_fma_f64 v[22:23], -v[11:12], v[18:19], 1.0
	v_fma_f64 v[18:19], v[18:19], v[22:23], v[18:19]
	v_mul_f64 v[22:23], v[20:21], v[18:19]
	v_fma_f64 v[11:12], -v[11:12], v[22:23], v[20:21]
	v_div_fmas_f64 v[11:12], v[11:12], v[18:19], v[22:23]
	v_div_fixup_f64 v[11:12], v[11:12], v[9:10], v[0:1]
	v_fma_f64 v[11:12], v[11:12], v[11:12], 1.0
	v_cmp_gt_f64_e32 vcc, s[10:11], v[11:12]
	v_cndmask_b32_e32 v18, 0, v16, vcc
	v_ldexp_f64 v[11:12], v[11:12], v18
	v_rsq_f64_e32 v[18:19], v[11:12]
	v_mul_f64 v[20:21], v[11:12], v[18:19]
	v_mul_f64 v[18:19], v[18:19], 0.5
	v_fma_f64 v[22:23], -v[18:19], v[20:21], 0.5
	v_fma_f64 v[20:21], v[20:21], v[22:23], v[20:21]
	v_fma_f64 v[18:19], v[18:19], v[22:23], v[18:19]
	v_fma_f64 v[22:23], -v[20:21], v[20:21], v[11:12]
	v_fma_f64 v[20:21], v[22:23], v[18:19], v[20:21]
	v_fma_f64 v[22:23], -v[20:21], v[20:21], v[11:12]
	v_fma_f64 v[18:19], v[22:23], v[18:19], v[20:21]
	v_cndmask_b32_e32 v20, 0, v17, vcc
	v_cmp_class_f64_e32 vcc, v[11:12], v15
	v_ldexp_f64 v[18:19], v[18:19], v20
	v_cndmask_b32_e32 v12, v19, v12, vcc
	v_cndmask_b32_e32 v11, v18, v11, vcc
	v_mul_f64 v[11:12], v[9:10], v[11:12]
.LBB18_10:                              ;   in Loop: Header=BB18_5 Depth=1
	s_or_b64 exec, exec, s[16:17]
	s_andn2_saveexec_b64 s[14:15], s[14:15]
	s_cbranch_execz .LBB18_7
.LBB18_11:                              ;   in Loop: Header=BB18_5 Depth=1
	v_div_scale_f64 v[11:12], s[16:17], v[0:1], v[0:1], v[9:10]
	v_rcp_f64_e32 v[18:19], v[11:12]
	v_fma_f64 v[20:21], -v[11:12], v[18:19], 1.0
	v_fma_f64 v[18:19], v[18:19], v[20:21], v[18:19]
	v_div_scale_f64 v[20:21], vcc, v[9:10], v[0:1], v[9:10]
	v_fma_f64 v[22:23], -v[11:12], v[18:19], 1.0
	v_fma_f64 v[18:19], v[18:19], v[22:23], v[18:19]
	v_mul_f64 v[22:23], v[20:21], v[18:19]
	v_fma_f64 v[11:12], -v[11:12], v[22:23], v[20:21]
	v_div_fmas_f64 v[11:12], v[11:12], v[18:19], v[22:23]
	v_div_fixup_f64 v[11:12], v[11:12], v[0:1], v[9:10]
	v_fma_f64 v[11:12], v[11:12], v[11:12], 1.0
	v_cmp_gt_f64_e32 vcc, s[10:11], v[11:12]
	v_cndmask_b32_e32 v18, 0, v16, vcc
	v_ldexp_f64 v[11:12], v[11:12], v18
	v_rsq_f64_e32 v[18:19], v[11:12]
	v_mul_f64 v[20:21], v[11:12], v[18:19]
	v_mul_f64 v[18:19], v[18:19], 0.5
	v_fma_f64 v[22:23], -v[18:19], v[20:21], 0.5
	v_fma_f64 v[20:21], v[20:21], v[22:23], v[20:21]
	v_fma_f64 v[18:19], v[18:19], v[22:23], v[18:19]
	v_fma_f64 v[22:23], -v[20:21], v[20:21], v[11:12]
	v_fma_f64 v[20:21], v[22:23], v[18:19], v[20:21]
	v_fma_f64 v[22:23], -v[20:21], v[20:21], v[11:12]
	v_fma_f64 v[18:19], v[22:23], v[18:19], v[20:21]
	v_cndmask_b32_e32 v20, 0, v17, vcc
	v_cmp_class_f64_e32 vcc, v[11:12], v15
	v_ldexp_f64 v[18:19], v[18:19], v20
	v_cndmask_b32_e32 v12, v19, v12, vcc
	v_cndmask_b32_e32 v11, v18, v11, vcc
	v_mul_f64 v[11:12], v[0:1], v[11:12]
	s_or_b64 exec, exec, s[14:15]
	v_cmp_lt_f64_e32 vcc, s[8:9], v[11:12]
	s_and_saveexec_b64 s[14:15], vcc
	s_cbranch_execz .LBB18_4
.LBB18_12:                              ;   in Loop: Header=BB18_5 Depth=1
                                        ; implicit-def: $vgpr11_vgpr12
	s_and_saveexec_b64 s[16:17], s[0:1]
	s_xor_b64 s[0:1], exec, s[16:17]
	s_cbranch_execnz .LBB18_15
; %bb.13:                               ;   in Loop: Header=BB18_5 Depth=1
	s_andn2_saveexec_b64 s[0:1], s[0:1]
	s_cbranch_execnz .LBB18_18
.LBB18_14:                              ;   in Loop: Header=BB18_5 Depth=1
	s_or_b64 exec, exec, s[0:1]
	v_cmp_lt_f64_e32 vcc, s[12:13], v[11:12]
	s_and_saveexec_b64 s[0:1], vcc
	s_cbranch_execz .LBB18_3
	s_branch .LBB18_19
.LBB18_15:                              ;   in Loop: Header=BB18_5 Depth=1
	v_cmp_neq_f64_e32 vcc, 0, v[2:3]
	v_mov_b32_e32 v11, 0
	v_mov_b32_e32 v12, 0
	s_and_saveexec_b64 s[16:17], vcc
	s_cbranch_execz .LBB18_17
; %bb.16:                               ;   in Loop: Header=BB18_5 Depth=1
	v_div_scale_f64 v[2:3], s[18:19], v[9:10], v[9:10], v[0:1]
	v_rcp_f64_e32 v[11:12], v[2:3]
	v_fma_f64 v[18:19], -v[2:3], v[11:12], 1.0
	v_fma_f64 v[11:12], v[11:12], v[18:19], v[11:12]
	v_div_scale_f64 v[18:19], vcc, v[0:1], v[9:10], v[0:1]
	v_fma_f64 v[20:21], -v[2:3], v[11:12], 1.0
	v_fma_f64 v[11:12], v[11:12], v[20:21], v[11:12]
	v_mul_f64 v[20:21], v[18:19], v[11:12]
	v_fma_f64 v[2:3], -v[2:3], v[20:21], v[18:19]
	v_div_fmas_f64 v[2:3], v[2:3], v[11:12], v[20:21]
	v_div_fixup_f64 v[0:1], v[2:3], v[9:10], v[0:1]
	v_fma_f64 v[0:1], v[0:1], v[0:1], 1.0
	v_cmp_gt_f64_e32 vcc, s[10:11], v[0:1]
	v_cndmask_b32_e32 v2, 0, v16, vcc
	v_ldexp_f64 v[0:1], v[0:1], v2
	v_rsq_f64_e32 v[2:3], v[0:1]
	v_mul_f64 v[11:12], v[0:1], v[2:3]
	v_mul_f64 v[2:3], v[2:3], 0.5
	v_fma_f64 v[18:19], -v[2:3], v[11:12], 0.5
	v_fma_f64 v[11:12], v[11:12], v[18:19], v[11:12]
	v_fma_f64 v[2:3], v[2:3], v[18:19], v[2:3]
	v_fma_f64 v[18:19], -v[11:12], v[11:12], v[0:1]
	v_fma_f64 v[11:12], v[18:19], v[2:3], v[11:12]
	v_fma_f64 v[18:19], -v[11:12], v[11:12], v[0:1]
	v_fma_f64 v[2:3], v[18:19], v[2:3], v[11:12]
	v_cndmask_b32_e32 v11, 0, v17, vcc
	v_cmp_class_f64_e32 vcc, v[0:1], v15
	v_ldexp_f64 v[2:3], v[2:3], v11
	v_cndmask_b32_e32 v1, v3, v1, vcc
	v_cndmask_b32_e32 v0, v2, v0, vcc
	v_mul_f64 v[11:12], v[9:10], v[0:1]
.LBB18_17:                              ;   in Loop: Header=BB18_5 Depth=1
	s_or_b64 exec, exec, s[16:17]
                                        ; implicit-def: $vgpr0_vgpr1
                                        ; implicit-def: $vgpr9_vgpr10
	s_andn2_saveexec_b64 s[0:1], s[0:1]
	s_cbranch_execz .LBB18_14
.LBB18_18:                              ;   in Loop: Header=BB18_5 Depth=1
	v_div_scale_f64 v[2:3], s[16:17], v[0:1], v[0:1], v[9:10]
	v_rcp_f64_e32 v[11:12], v[2:3]
	v_fma_f64 v[18:19], -v[2:3], v[11:12], 1.0
	v_fma_f64 v[11:12], v[11:12], v[18:19], v[11:12]
	v_div_scale_f64 v[18:19], vcc, v[9:10], v[0:1], v[9:10]
	v_fma_f64 v[20:21], -v[2:3], v[11:12], 1.0
	v_fma_f64 v[11:12], v[11:12], v[20:21], v[11:12]
	v_mul_f64 v[20:21], v[18:19], v[11:12]
	v_fma_f64 v[2:3], -v[2:3], v[20:21], v[18:19]
	v_div_fmas_f64 v[2:3], v[2:3], v[11:12], v[20:21]
	v_div_fixup_f64 v[2:3], v[2:3], v[0:1], v[9:10]
	v_fma_f64 v[2:3], v[2:3], v[2:3], 1.0
	v_cmp_gt_f64_e32 vcc, s[10:11], v[2:3]
	v_cndmask_b32_e32 v9, 0, v16, vcc
	v_ldexp_f64 v[2:3], v[2:3], v9
	v_rsq_f64_e32 v[9:10], v[2:3]
	v_mul_f64 v[11:12], v[2:3], v[9:10]
	v_mul_f64 v[9:10], v[9:10], 0.5
	v_fma_f64 v[18:19], -v[9:10], v[11:12], 0.5
	v_fma_f64 v[11:12], v[11:12], v[18:19], v[11:12]
	v_fma_f64 v[9:10], v[9:10], v[18:19], v[9:10]
	v_fma_f64 v[18:19], -v[11:12], v[11:12], v[2:3]
	v_fma_f64 v[11:12], v[18:19], v[9:10], v[11:12]
	v_fma_f64 v[18:19], -v[11:12], v[11:12], v[2:3]
	v_fma_f64 v[9:10], v[18:19], v[9:10], v[11:12]
	v_cndmask_b32_e32 v11, 0, v17, vcc
	v_cmp_class_f64_e32 vcc, v[2:3], v15
	v_ldexp_f64 v[9:10], v[9:10], v11
	v_cndmask_b32_e32 v3, v10, v3, vcc
	v_cndmask_b32_e32 v2, v9, v2, vcc
	v_mul_f64 v[11:12], v[0:1], v[2:3]
	s_or_b64 exec, exec, s[0:1]
	v_cmp_lt_f64_e32 vcc, s[12:13], v[11:12]
	s_and_saveexec_b64 s[0:1], vcc
	s_cbranch_execz .LBB18_3
.LBB18_19:                              ;   in Loop: Header=BB18_5 Depth=1
	v_add_u32_e32 v14, 1, v14
	s_branch .LBB18_3
.LBB18_20:
	s_or_b64 exec, exec, s[4:5]
.LBB18_21:
	s_or_b64 exec, exec, s[6:7]
	v_mbcnt_lo_u32_b32 v1, -1, 0
	v_mov_b32_dpp v0, v14 row_shr:1 row_mask:0xf bank_mask:0xf
	v_mbcnt_hi_u32_b32 v1, -1, v1
	v_add_u32_e32 v0, v0, v14
	v_lshl_or_b32 v1, v1, 2, 4
	ds_bpermute_b32 v2, v1, v0
	v_mov_b32_e32 v1, s3
	v_add_co_u32_e32 v0, vcc, s2, v4
	v_addc_co_u32_e32 v1, vcc, v1, v5, vcc
	s_waitcnt lgkmcnt(0)
	global_store_dword v[0:1], v2, off
.LBB18_22:
	s_endpgm
	.section	.rodata,"a",@progbits
	.p2align	6, 0x0
	.amdhsa_kernel _ZN9rocsparseL19nnz_compress_kernelILi1024ELi512ELi2E21rocsparse_complex_numIdEEEvi21rocsparse_index_base_PKT2_PKiPiS4_
		.amdhsa_group_segment_fixed_size 0
		.amdhsa_private_segment_fixed_size 0
		.amdhsa_kernarg_size 48
		.amdhsa_user_sgpr_count 6
		.amdhsa_user_sgpr_private_segment_buffer 1
		.amdhsa_user_sgpr_dispatch_ptr 0
		.amdhsa_user_sgpr_queue_ptr 0
		.amdhsa_user_sgpr_kernarg_segment_ptr 1
		.amdhsa_user_sgpr_dispatch_id 0
		.amdhsa_user_sgpr_flat_scratch_init 0
		.amdhsa_user_sgpr_private_segment_size 0
		.amdhsa_uses_dynamic_stack 0
		.amdhsa_system_sgpr_private_segment_wavefront_offset 0
		.amdhsa_system_sgpr_workgroup_id_x 1
		.amdhsa_system_sgpr_workgroup_id_y 0
		.amdhsa_system_sgpr_workgroup_id_z 0
		.amdhsa_system_sgpr_workgroup_info 0
		.amdhsa_system_vgpr_workitem_id 0
		.amdhsa_next_free_vgpr 24
		.amdhsa_next_free_sgpr 20
		.amdhsa_reserve_vcc 1
		.amdhsa_reserve_flat_scratch 0
		.amdhsa_float_round_mode_32 0
		.amdhsa_float_round_mode_16_64 0
		.amdhsa_float_denorm_mode_32 3
		.amdhsa_float_denorm_mode_16_64 3
		.amdhsa_dx10_clamp 1
		.amdhsa_ieee_mode 1
		.amdhsa_fp16_overflow 0
		.amdhsa_exception_fp_ieee_invalid_op 0
		.amdhsa_exception_fp_denorm_src 0
		.amdhsa_exception_fp_ieee_div_zero 0
		.amdhsa_exception_fp_ieee_overflow 0
		.amdhsa_exception_fp_ieee_underflow 0
		.amdhsa_exception_fp_ieee_inexact 0
		.amdhsa_exception_int_div_zero 0
	.end_amdhsa_kernel
	.section	.text._ZN9rocsparseL19nnz_compress_kernelILi1024ELi512ELi2E21rocsparse_complex_numIdEEEvi21rocsparse_index_base_PKT2_PKiPiS4_,"axG",@progbits,_ZN9rocsparseL19nnz_compress_kernelILi1024ELi512ELi2E21rocsparse_complex_numIdEEEvi21rocsparse_index_base_PKT2_PKiPiS4_,comdat
.Lfunc_end18:
	.size	_ZN9rocsparseL19nnz_compress_kernelILi1024ELi512ELi2E21rocsparse_complex_numIdEEEvi21rocsparse_index_base_PKT2_PKiPiS4_, .Lfunc_end18-_ZN9rocsparseL19nnz_compress_kernelILi1024ELi512ELi2E21rocsparse_complex_numIdEEEvi21rocsparse_index_base_PKT2_PKiPiS4_
                                        ; -- End function
	.set _ZN9rocsparseL19nnz_compress_kernelILi1024ELi512ELi2E21rocsparse_complex_numIdEEEvi21rocsparse_index_base_PKT2_PKiPiS4_.num_vgpr, 24
	.set _ZN9rocsparseL19nnz_compress_kernelILi1024ELi512ELi2E21rocsparse_complex_numIdEEEvi21rocsparse_index_base_PKT2_PKiPiS4_.num_agpr, 0
	.set _ZN9rocsparseL19nnz_compress_kernelILi1024ELi512ELi2E21rocsparse_complex_numIdEEEvi21rocsparse_index_base_PKT2_PKiPiS4_.numbered_sgpr, 20
	.set _ZN9rocsparseL19nnz_compress_kernelILi1024ELi512ELi2E21rocsparse_complex_numIdEEEvi21rocsparse_index_base_PKT2_PKiPiS4_.num_named_barrier, 0
	.set _ZN9rocsparseL19nnz_compress_kernelILi1024ELi512ELi2E21rocsparse_complex_numIdEEEvi21rocsparse_index_base_PKT2_PKiPiS4_.private_seg_size, 0
	.set _ZN9rocsparseL19nnz_compress_kernelILi1024ELi512ELi2E21rocsparse_complex_numIdEEEvi21rocsparse_index_base_PKT2_PKiPiS4_.uses_vcc, 1
	.set _ZN9rocsparseL19nnz_compress_kernelILi1024ELi512ELi2E21rocsparse_complex_numIdEEEvi21rocsparse_index_base_PKT2_PKiPiS4_.uses_flat_scratch, 0
	.set _ZN9rocsparseL19nnz_compress_kernelILi1024ELi512ELi2E21rocsparse_complex_numIdEEEvi21rocsparse_index_base_PKT2_PKiPiS4_.has_dyn_sized_stack, 0
	.set _ZN9rocsparseL19nnz_compress_kernelILi1024ELi512ELi2E21rocsparse_complex_numIdEEEvi21rocsparse_index_base_PKT2_PKiPiS4_.has_recursion, 0
	.set _ZN9rocsparseL19nnz_compress_kernelILi1024ELi512ELi2E21rocsparse_complex_numIdEEEvi21rocsparse_index_base_PKT2_PKiPiS4_.has_indirect_call, 0
	.section	.AMDGPU.csdata,"",@progbits
; Kernel info:
; codeLenInByte = 1444
; TotalNumSgprs: 24
; NumVgprs: 24
; ScratchSize: 0
; MemoryBound: 0
; FloatMode: 240
; IeeeMode: 1
; LDSByteSize: 0 bytes/workgroup (compile time only)
; SGPRBlocks: 2
; VGPRBlocks: 5
; NumSGPRsForWavesPerEU: 24
; NumVGPRsForWavesPerEU: 24
; Occupancy: 10
; WaveLimiterHint : 0
; COMPUTE_PGM_RSRC2:SCRATCH_EN: 0
; COMPUTE_PGM_RSRC2:USER_SGPR: 6
; COMPUTE_PGM_RSRC2:TRAP_HANDLER: 0
; COMPUTE_PGM_RSRC2:TGID_X_EN: 1
; COMPUTE_PGM_RSRC2:TGID_Y_EN: 0
; COMPUTE_PGM_RSRC2:TGID_Z_EN: 0
; COMPUTE_PGM_RSRC2:TIDIG_COMP_CNT: 0
	.section	.text._ZN9rocsparseL19nnz_compress_kernelILi1024ELi256ELi4E21rocsparse_complex_numIdEEEvi21rocsparse_index_base_PKT2_PKiPiS4_,"axG",@progbits,_ZN9rocsparseL19nnz_compress_kernelILi1024ELi256ELi4E21rocsparse_complex_numIdEEEvi21rocsparse_index_base_PKT2_PKiPiS4_,comdat
	.globl	_ZN9rocsparseL19nnz_compress_kernelILi1024ELi256ELi4E21rocsparse_complex_numIdEEEvi21rocsparse_index_base_PKT2_PKiPiS4_ ; -- Begin function _ZN9rocsparseL19nnz_compress_kernelILi1024ELi256ELi4E21rocsparse_complex_numIdEEEvi21rocsparse_index_base_PKT2_PKiPiS4_
	.p2align	8
	.type	_ZN9rocsparseL19nnz_compress_kernelILi1024ELi256ELi4E21rocsparse_complex_numIdEEEvi21rocsparse_index_base_PKT2_PKiPiS4_,@function
_ZN9rocsparseL19nnz_compress_kernelILi1024ELi256ELi4E21rocsparse_complex_numIdEEEvi21rocsparse_index_base_PKT2_PKiPiS4_: ; @_ZN9rocsparseL19nnz_compress_kernelILi1024ELi256ELi4E21rocsparse_complex_numIdEEEvi21rocsparse_index_base_PKT2_PKiPiS4_
; %bb.0:
	s_load_dwordx2 s[8:9], s[4:5], 0x0
	v_lshrrev_b32_e32 v1, 2, v0
	v_lshl_or_b32 v1, s6, 8, v1
	s_waitcnt lgkmcnt(0)
	v_cmp_gt_i32_e32 vcc, s8, v1
	s_and_saveexec_b64 s[0:1], vcc
	s_cbranch_execz .LBB19_22
; %bb.1:
	s_load_dwordx4 s[0:3], s[4:5], 0x10
	v_ashrrev_i32_e32 v2, 31, v1
	v_lshlrev_b64 v[4:5], 2, v[1:2]
	v_and_b32_e32 v0, 3, v0
	v_subrev_u32_e32 v0, s9, v0
	s_waitcnt lgkmcnt(0)
	v_mov_b32_e32 v2, s1
	v_add_co_u32_e32 v1, vcc, s0, v4
	v_addc_co_u32_e32 v2, vcc, v2, v5, vcc
	global_load_dwordx2 v[1:2], v[1:2], off
	v_mov_b32_e32 v14, 0
	s_waitcnt vmcnt(0)
	v_subrev_u32_e32 v13, s9, v2
	v_add_u32_e32 v6, v1, v0
	v_cmp_lt_i32_e32 vcc, v6, v13
	s_and_saveexec_b64 s[6:7], vcc
	s_cbranch_execz .LBB19_21
; %bb.2:
	s_load_dwordx2 s[0:1], s[4:5], 0x8
	s_load_dwordx2 s[8:9], s[4:5], 0x20
	v_ashrrev_i32_e32 v7, 31, v6
	v_lshlrev_b64 v[0:1], 4, v[6:7]
	s_mov_b32 s10, 0
	s_waitcnt lgkmcnt(0)
	v_mov_b32_e32 v2, s1
	v_add_co_u32_e32 v0, vcc, s0, v0
	v_addc_co_u32_e32 v1, vcc, v2, v1, vcc
	v_add_co_u32_e32 v7, vcc, 8, v0
	s_mov_b32 s12, 0
	v_addc_co_u32_e32 v8, vcc, 0, v1, vcc
	v_mov_b32_e32 v14, 0
	s_mov_b64 s[4:5], 0
	s_brev_b32 s11, 8
	v_mov_b32_e32 v15, 0x260
	s_mov_b32 s13, 0x38100000
	v_mov_b32_e32 v16, 0x100
	v_mov_b32_e32 v17, 0xffffff80
	s_branch .LBB19_5
.LBB19_3:                               ;   in Loop: Header=BB19_5 Depth=1
	s_or_b64 exec, exec, s[0:1]
.LBB19_4:                               ;   in Loop: Header=BB19_5 Depth=1
	s_or_b64 exec, exec, s[14:15]
	v_add_u32_e32 v6, 4, v6
	v_cmp_ge_i32_e32 vcc, v6, v13
	s_or_b64 s[4:5], vcc, s[4:5]
	v_add_co_u32_e32 v7, vcc, 64, v7
	v_addc_co_u32_e32 v8, vcc, 0, v8, vcc
	s_andn2_b64 exec, exec, s[4:5]
	s_cbranch_execz .LBB19_20
.LBB19_5:                               ; =>This Inner Loop Header: Depth=1
	global_load_dwordx4 v[0:3], v[7:8], off offset:-8
                                        ; implicit-def: $vgpr11_vgpr12
	s_waitcnt vmcnt(0)
	v_cmp_gt_f64_e32 vcc, 0, v[0:1]
	v_xor_b32_e32 v9, 0x80000000, v1
	v_xor_b32_e32 v10, 0x80000000, v3
	v_cndmask_b32_e32 v1, v1, v9, vcc
	v_cmp_gt_f64_e32 vcc, 0, v[2:3]
	v_mov_b32_e32 v9, v2
	v_cndmask_b32_e32 v10, v3, v10, vcc
	v_cmp_ngt_f64_e64 s[0:1], v[0:1], v[9:10]
	s_and_saveexec_b64 s[14:15], s[0:1]
	s_xor_b64 s[14:15], exec, s[14:15]
	s_cbranch_execnz .LBB19_8
; %bb.6:                                ;   in Loop: Header=BB19_5 Depth=1
	s_andn2_saveexec_b64 s[14:15], s[14:15]
	s_cbranch_execnz .LBB19_11
.LBB19_7:                               ;   in Loop: Header=BB19_5 Depth=1
	s_or_b64 exec, exec, s[14:15]
	v_cmp_lt_f64_e32 vcc, s[8:9], v[11:12]
	s_and_saveexec_b64 s[14:15], vcc
	s_cbranch_execz .LBB19_4
	s_branch .LBB19_12
.LBB19_8:                               ;   in Loop: Header=BB19_5 Depth=1
	v_cmp_neq_f64_e32 vcc, 0, v[2:3]
	v_mov_b32_e32 v11, 0
	v_mov_b32_e32 v12, 0
	s_and_saveexec_b64 s[16:17], vcc
	s_cbranch_execz .LBB19_10
; %bb.9:                                ;   in Loop: Header=BB19_5 Depth=1
	v_div_scale_f64 v[11:12], s[18:19], v[9:10], v[9:10], v[0:1]
	v_rcp_f64_e32 v[18:19], v[11:12]
	v_fma_f64 v[20:21], -v[11:12], v[18:19], 1.0
	v_fma_f64 v[18:19], v[18:19], v[20:21], v[18:19]
	v_div_scale_f64 v[20:21], vcc, v[0:1], v[9:10], v[0:1]
	v_fma_f64 v[22:23], -v[11:12], v[18:19], 1.0
	v_fma_f64 v[18:19], v[18:19], v[22:23], v[18:19]
	v_mul_f64 v[22:23], v[20:21], v[18:19]
	v_fma_f64 v[11:12], -v[11:12], v[22:23], v[20:21]
	v_div_fmas_f64 v[11:12], v[11:12], v[18:19], v[22:23]
	v_div_fixup_f64 v[11:12], v[11:12], v[9:10], v[0:1]
	v_fma_f64 v[11:12], v[11:12], v[11:12], 1.0
	v_cmp_gt_f64_e32 vcc, s[10:11], v[11:12]
	v_cndmask_b32_e32 v18, 0, v16, vcc
	v_ldexp_f64 v[11:12], v[11:12], v18
	v_rsq_f64_e32 v[18:19], v[11:12]
	v_mul_f64 v[20:21], v[11:12], v[18:19]
	v_mul_f64 v[18:19], v[18:19], 0.5
	v_fma_f64 v[22:23], -v[18:19], v[20:21], 0.5
	v_fma_f64 v[20:21], v[20:21], v[22:23], v[20:21]
	v_fma_f64 v[18:19], v[18:19], v[22:23], v[18:19]
	v_fma_f64 v[22:23], -v[20:21], v[20:21], v[11:12]
	v_fma_f64 v[20:21], v[22:23], v[18:19], v[20:21]
	v_fma_f64 v[22:23], -v[20:21], v[20:21], v[11:12]
	v_fma_f64 v[18:19], v[22:23], v[18:19], v[20:21]
	v_cndmask_b32_e32 v20, 0, v17, vcc
	v_cmp_class_f64_e32 vcc, v[11:12], v15
	v_ldexp_f64 v[18:19], v[18:19], v20
	v_cndmask_b32_e32 v12, v19, v12, vcc
	v_cndmask_b32_e32 v11, v18, v11, vcc
	v_mul_f64 v[11:12], v[9:10], v[11:12]
.LBB19_10:                              ;   in Loop: Header=BB19_5 Depth=1
	s_or_b64 exec, exec, s[16:17]
	s_andn2_saveexec_b64 s[14:15], s[14:15]
	s_cbranch_execz .LBB19_7
.LBB19_11:                              ;   in Loop: Header=BB19_5 Depth=1
	v_div_scale_f64 v[11:12], s[16:17], v[0:1], v[0:1], v[9:10]
	v_rcp_f64_e32 v[18:19], v[11:12]
	v_fma_f64 v[20:21], -v[11:12], v[18:19], 1.0
	v_fma_f64 v[18:19], v[18:19], v[20:21], v[18:19]
	v_div_scale_f64 v[20:21], vcc, v[9:10], v[0:1], v[9:10]
	v_fma_f64 v[22:23], -v[11:12], v[18:19], 1.0
	v_fma_f64 v[18:19], v[18:19], v[22:23], v[18:19]
	v_mul_f64 v[22:23], v[20:21], v[18:19]
	v_fma_f64 v[11:12], -v[11:12], v[22:23], v[20:21]
	v_div_fmas_f64 v[11:12], v[11:12], v[18:19], v[22:23]
	v_div_fixup_f64 v[11:12], v[11:12], v[0:1], v[9:10]
	v_fma_f64 v[11:12], v[11:12], v[11:12], 1.0
	v_cmp_gt_f64_e32 vcc, s[10:11], v[11:12]
	v_cndmask_b32_e32 v18, 0, v16, vcc
	v_ldexp_f64 v[11:12], v[11:12], v18
	v_rsq_f64_e32 v[18:19], v[11:12]
	v_mul_f64 v[20:21], v[11:12], v[18:19]
	v_mul_f64 v[18:19], v[18:19], 0.5
	v_fma_f64 v[22:23], -v[18:19], v[20:21], 0.5
	v_fma_f64 v[20:21], v[20:21], v[22:23], v[20:21]
	v_fma_f64 v[18:19], v[18:19], v[22:23], v[18:19]
	v_fma_f64 v[22:23], -v[20:21], v[20:21], v[11:12]
	v_fma_f64 v[20:21], v[22:23], v[18:19], v[20:21]
	v_fma_f64 v[22:23], -v[20:21], v[20:21], v[11:12]
	v_fma_f64 v[18:19], v[22:23], v[18:19], v[20:21]
	v_cndmask_b32_e32 v20, 0, v17, vcc
	v_cmp_class_f64_e32 vcc, v[11:12], v15
	v_ldexp_f64 v[18:19], v[18:19], v20
	v_cndmask_b32_e32 v12, v19, v12, vcc
	v_cndmask_b32_e32 v11, v18, v11, vcc
	v_mul_f64 v[11:12], v[0:1], v[11:12]
	s_or_b64 exec, exec, s[14:15]
	v_cmp_lt_f64_e32 vcc, s[8:9], v[11:12]
	s_and_saveexec_b64 s[14:15], vcc
	s_cbranch_execz .LBB19_4
.LBB19_12:                              ;   in Loop: Header=BB19_5 Depth=1
                                        ; implicit-def: $vgpr11_vgpr12
	s_and_saveexec_b64 s[16:17], s[0:1]
	s_xor_b64 s[0:1], exec, s[16:17]
	s_cbranch_execnz .LBB19_15
; %bb.13:                               ;   in Loop: Header=BB19_5 Depth=1
	s_andn2_saveexec_b64 s[0:1], s[0:1]
	s_cbranch_execnz .LBB19_18
.LBB19_14:                              ;   in Loop: Header=BB19_5 Depth=1
	s_or_b64 exec, exec, s[0:1]
	v_cmp_lt_f64_e32 vcc, s[12:13], v[11:12]
	s_and_saveexec_b64 s[0:1], vcc
	s_cbranch_execz .LBB19_3
	s_branch .LBB19_19
.LBB19_15:                              ;   in Loop: Header=BB19_5 Depth=1
	v_cmp_neq_f64_e32 vcc, 0, v[2:3]
	v_mov_b32_e32 v11, 0
	v_mov_b32_e32 v12, 0
	s_and_saveexec_b64 s[16:17], vcc
	s_cbranch_execz .LBB19_17
; %bb.16:                               ;   in Loop: Header=BB19_5 Depth=1
	v_div_scale_f64 v[2:3], s[18:19], v[9:10], v[9:10], v[0:1]
	v_rcp_f64_e32 v[11:12], v[2:3]
	v_fma_f64 v[18:19], -v[2:3], v[11:12], 1.0
	v_fma_f64 v[11:12], v[11:12], v[18:19], v[11:12]
	v_div_scale_f64 v[18:19], vcc, v[0:1], v[9:10], v[0:1]
	v_fma_f64 v[20:21], -v[2:3], v[11:12], 1.0
	v_fma_f64 v[11:12], v[11:12], v[20:21], v[11:12]
	v_mul_f64 v[20:21], v[18:19], v[11:12]
	v_fma_f64 v[2:3], -v[2:3], v[20:21], v[18:19]
	v_div_fmas_f64 v[2:3], v[2:3], v[11:12], v[20:21]
	v_div_fixup_f64 v[0:1], v[2:3], v[9:10], v[0:1]
	v_fma_f64 v[0:1], v[0:1], v[0:1], 1.0
	v_cmp_gt_f64_e32 vcc, s[10:11], v[0:1]
	v_cndmask_b32_e32 v2, 0, v16, vcc
	v_ldexp_f64 v[0:1], v[0:1], v2
	v_rsq_f64_e32 v[2:3], v[0:1]
	v_mul_f64 v[11:12], v[0:1], v[2:3]
	v_mul_f64 v[2:3], v[2:3], 0.5
	v_fma_f64 v[18:19], -v[2:3], v[11:12], 0.5
	v_fma_f64 v[11:12], v[11:12], v[18:19], v[11:12]
	v_fma_f64 v[2:3], v[2:3], v[18:19], v[2:3]
	v_fma_f64 v[18:19], -v[11:12], v[11:12], v[0:1]
	v_fma_f64 v[11:12], v[18:19], v[2:3], v[11:12]
	v_fma_f64 v[18:19], -v[11:12], v[11:12], v[0:1]
	v_fma_f64 v[2:3], v[18:19], v[2:3], v[11:12]
	v_cndmask_b32_e32 v11, 0, v17, vcc
	v_cmp_class_f64_e32 vcc, v[0:1], v15
	v_ldexp_f64 v[2:3], v[2:3], v11
	v_cndmask_b32_e32 v1, v3, v1, vcc
	v_cndmask_b32_e32 v0, v2, v0, vcc
	v_mul_f64 v[11:12], v[9:10], v[0:1]
.LBB19_17:                              ;   in Loop: Header=BB19_5 Depth=1
	s_or_b64 exec, exec, s[16:17]
                                        ; implicit-def: $vgpr0_vgpr1
                                        ; implicit-def: $vgpr9_vgpr10
	s_andn2_saveexec_b64 s[0:1], s[0:1]
	s_cbranch_execz .LBB19_14
.LBB19_18:                              ;   in Loop: Header=BB19_5 Depth=1
	v_div_scale_f64 v[2:3], s[16:17], v[0:1], v[0:1], v[9:10]
	v_rcp_f64_e32 v[11:12], v[2:3]
	v_fma_f64 v[18:19], -v[2:3], v[11:12], 1.0
	v_fma_f64 v[11:12], v[11:12], v[18:19], v[11:12]
	v_div_scale_f64 v[18:19], vcc, v[9:10], v[0:1], v[9:10]
	v_fma_f64 v[20:21], -v[2:3], v[11:12], 1.0
	v_fma_f64 v[11:12], v[11:12], v[20:21], v[11:12]
	v_mul_f64 v[20:21], v[18:19], v[11:12]
	v_fma_f64 v[2:3], -v[2:3], v[20:21], v[18:19]
	v_div_fmas_f64 v[2:3], v[2:3], v[11:12], v[20:21]
	v_div_fixup_f64 v[2:3], v[2:3], v[0:1], v[9:10]
	v_fma_f64 v[2:3], v[2:3], v[2:3], 1.0
	v_cmp_gt_f64_e32 vcc, s[10:11], v[2:3]
	v_cndmask_b32_e32 v9, 0, v16, vcc
	v_ldexp_f64 v[2:3], v[2:3], v9
	v_rsq_f64_e32 v[9:10], v[2:3]
	v_mul_f64 v[11:12], v[2:3], v[9:10]
	v_mul_f64 v[9:10], v[9:10], 0.5
	v_fma_f64 v[18:19], -v[9:10], v[11:12], 0.5
	v_fma_f64 v[11:12], v[11:12], v[18:19], v[11:12]
	v_fma_f64 v[9:10], v[9:10], v[18:19], v[9:10]
	v_fma_f64 v[18:19], -v[11:12], v[11:12], v[2:3]
	v_fma_f64 v[11:12], v[18:19], v[9:10], v[11:12]
	v_fma_f64 v[18:19], -v[11:12], v[11:12], v[2:3]
	v_fma_f64 v[9:10], v[18:19], v[9:10], v[11:12]
	v_cndmask_b32_e32 v11, 0, v17, vcc
	v_cmp_class_f64_e32 vcc, v[2:3], v15
	v_ldexp_f64 v[9:10], v[9:10], v11
	v_cndmask_b32_e32 v3, v10, v3, vcc
	v_cndmask_b32_e32 v2, v9, v2, vcc
	v_mul_f64 v[11:12], v[0:1], v[2:3]
	s_or_b64 exec, exec, s[0:1]
	v_cmp_lt_f64_e32 vcc, s[12:13], v[11:12]
	s_and_saveexec_b64 s[0:1], vcc
	s_cbranch_execz .LBB19_3
.LBB19_19:                              ;   in Loop: Header=BB19_5 Depth=1
	v_add_u32_e32 v14, 1, v14
	s_branch .LBB19_3
.LBB19_20:
	s_or_b64 exec, exec, s[4:5]
.LBB19_21:
	s_or_b64 exec, exec, s[6:7]
	v_mov_b32_dpp v0, v14 row_shr:1 row_mask:0xf bank_mask:0xf
	v_add_u32_e32 v0, v0, v14
	s_nop 1
	v_mov_b32_dpp v1, v0 row_shr:2 row_mask:0xf bank_mask:0xf
	v_add_u32_e32 v0, v0, v1
	v_mbcnt_lo_u32_b32 v1, -1, 0
	v_mbcnt_hi_u32_b32 v1, -1, v1
	v_lshl_or_b32 v1, v1, 2, 12
	ds_bpermute_b32 v2, v1, v0
	v_mov_b32_e32 v1, s3
	v_add_co_u32_e32 v0, vcc, s2, v4
	v_addc_co_u32_e32 v1, vcc, v1, v5, vcc
	s_waitcnt lgkmcnt(0)
	global_store_dword v[0:1], v2, off
.LBB19_22:
	s_endpgm
	.section	.rodata,"a",@progbits
	.p2align	6, 0x0
	.amdhsa_kernel _ZN9rocsparseL19nnz_compress_kernelILi1024ELi256ELi4E21rocsparse_complex_numIdEEEvi21rocsparse_index_base_PKT2_PKiPiS4_
		.amdhsa_group_segment_fixed_size 0
		.amdhsa_private_segment_fixed_size 0
		.amdhsa_kernarg_size 48
		.amdhsa_user_sgpr_count 6
		.amdhsa_user_sgpr_private_segment_buffer 1
		.amdhsa_user_sgpr_dispatch_ptr 0
		.amdhsa_user_sgpr_queue_ptr 0
		.amdhsa_user_sgpr_kernarg_segment_ptr 1
		.amdhsa_user_sgpr_dispatch_id 0
		.amdhsa_user_sgpr_flat_scratch_init 0
		.amdhsa_user_sgpr_private_segment_size 0
		.amdhsa_uses_dynamic_stack 0
		.amdhsa_system_sgpr_private_segment_wavefront_offset 0
		.amdhsa_system_sgpr_workgroup_id_x 1
		.amdhsa_system_sgpr_workgroup_id_y 0
		.amdhsa_system_sgpr_workgroup_id_z 0
		.amdhsa_system_sgpr_workgroup_info 0
		.amdhsa_system_vgpr_workitem_id 0
		.amdhsa_next_free_vgpr 24
		.amdhsa_next_free_sgpr 20
		.amdhsa_reserve_vcc 1
		.amdhsa_reserve_flat_scratch 0
		.amdhsa_float_round_mode_32 0
		.amdhsa_float_round_mode_16_64 0
		.amdhsa_float_denorm_mode_32 3
		.amdhsa_float_denorm_mode_16_64 3
		.amdhsa_dx10_clamp 1
		.amdhsa_ieee_mode 1
		.amdhsa_fp16_overflow 0
		.amdhsa_exception_fp_ieee_invalid_op 0
		.amdhsa_exception_fp_denorm_src 0
		.amdhsa_exception_fp_ieee_div_zero 0
		.amdhsa_exception_fp_ieee_overflow 0
		.amdhsa_exception_fp_ieee_underflow 0
		.amdhsa_exception_fp_ieee_inexact 0
		.amdhsa_exception_int_div_zero 0
	.end_amdhsa_kernel
	.section	.text._ZN9rocsparseL19nnz_compress_kernelILi1024ELi256ELi4E21rocsparse_complex_numIdEEEvi21rocsparse_index_base_PKT2_PKiPiS4_,"axG",@progbits,_ZN9rocsparseL19nnz_compress_kernelILi1024ELi256ELi4E21rocsparse_complex_numIdEEEvi21rocsparse_index_base_PKT2_PKiPiS4_,comdat
.Lfunc_end19:
	.size	_ZN9rocsparseL19nnz_compress_kernelILi1024ELi256ELi4E21rocsparse_complex_numIdEEEvi21rocsparse_index_base_PKT2_PKiPiS4_, .Lfunc_end19-_ZN9rocsparseL19nnz_compress_kernelILi1024ELi256ELi4E21rocsparse_complex_numIdEEEvi21rocsparse_index_base_PKT2_PKiPiS4_
                                        ; -- End function
	.set _ZN9rocsparseL19nnz_compress_kernelILi1024ELi256ELi4E21rocsparse_complex_numIdEEEvi21rocsparse_index_base_PKT2_PKiPiS4_.num_vgpr, 24
	.set _ZN9rocsparseL19nnz_compress_kernelILi1024ELi256ELi4E21rocsparse_complex_numIdEEEvi21rocsparse_index_base_PKT2_PKiPiS4_.num_agpr, 0
	.set _ZN9rocsparseL19nnz_compress_kernelILi1024ELi256ELi4E21rocsparse_complex_numIdEEEvi21rocsparse_index_base_PKT2_PKiPiS4_.numbered_sgpr, 20
	.set _ZN9rocsparseL19nnz_compress_kernelILi1024ELi256ELi4E21rocsparse_complex_numIdEEEvi21rocsparse_index_base_PKT2_PKiPiS4_.num_named_barrier, 0
	.set _ZN9rocsparseL19nnz_compress_kernelILi1024ELi256ELi4E21rocsparse_complex_numIdEEEvi21rocsparse_index_base_PKT2_PKiPiS4_.private_seg_size, 0
	.set _ZN9rocsparseL19nnz_compress_kernelILi1024ELi256ELi4E21rocsparse_complex_numIdEEEvi21rocsparse_index_base_PKT2_PKiPiS4_.uses_vcc, 1
	.set _ZN9rocsparseL19nnz_compress_kernelILi1024ELi256ELi4E21rocsparse_complex_numIdEEEvi21rocsparse_index_base_PKT2_PKiPiS4_.uses_flat_scratch, 0
	.set _ZN9rocsparseL19nnz_compress_kernelILi1024ELi256ELi4E21rocsparse_complex_numIdEEEvi21rocsparse_index_base_PKT2_PKiPiS4_.has_dyn_sized_stack, 0
	.set _ZN9rocsparseL19nnz_compress_kernelILi1024ELi256ELi4E21rocsparse_complex_numIdEEEvi21rocsparse_index_base_PKT2_PKiPiS4_.has_recursion, 0
	.set _ZN9rocsparseL19nnz_compress_kernelILi1024ELi256ELi4E21rocsparse_complex_numIdEEEvi21rocsparse_index_base_PKT2_PKiPiS4_.has_indirect_call, 0
	.section	.AMDGPU.csdata,"",@progbits
; Kernel info:
; codeLenInByte = 1460
; TotalNumSgprs: 24
; NumVgprs: 24
; ScratchSize: 0
; MemoryBound: 0
; FloatMode: 240
; IeeeMode: 1
; LDSByteSize: 0 bytes/workgroup (compile time only)
; SGPRBlocks: 2
; VGPRBlocks: 5
; NumSGPRsForWavesPerEU: 24
; NumVGPRsForWavesPerEU: 24
; Occupancy: 10
; WaveLimiterHint : 0
; COMPUTE_PGM_RSRC2:SCRATCH_EN: 0
; COMPUTE_PGM_RSRC2:USER_SGPR: 6
; COMPUTE_PGM_RSRC2:TRAP_HANDLER: 0
; COMPUTE_PGM_RSRC2:TGID_X_EN: 1
; COMPUTE_PGM_RSRC2:TGID_Y_EN: 0
; COMPUTE_PGM_RSRC2:TGID_Z_EN: 0
; COMPUTE_PGM_RSRC2:TIDIG_COMP_CNT: 0
	.section	.text._ZN9rocsparseL19nnz_compress_kernelILi1024ELi128ELi8E21rocsparse_complex_numIdEEEvi21rocsparse_index_base_PKT2_PKiPiS4_,"axG",@progbits,_ZN9rocsparseL19nnz_compress_kernelILi1024ELi128ELi8E21rocsparse_complex_numIdEEEvi21rocsparse_index_base_PKT2_PKiPiS4_,comdat
	.globl	_ZN9rocsparseL19nnz_compress_kernelILi1024ELi128ELi8E21rocsparse_complex_numIdEEEvi21rocsparse_index_base_PKT2_PKiPiS4_ ; -- Begin function _ZN9rocsparseL19nnz_compress_kernelILi1024ELi128ELi8E21rocsparse_complex_numIdEEEvi21rocsparse_index_base_PKT2_PKiPiS4_
	.p2align	8
	.type	_ZN9rocsparseL19nnz_compress_kernelILi1024ELi128ELi8E21rocsparse_complex_numIdEEEvi21rocsparse_index_base_PKT2_PKiPiS4_,@function
_ZN9rocsparseL19nnz_compress_kernelILi1024ELi128ELi8E21rocsparse_complex_numIdEEEvi21rocsparse_index_base_PKT2_PKiPiS4_: ; @_ZN9rocsparseL19nnz_compress_kernelILi1024ELi128ELi8E21rocsparse_complex_numIdEEEvi21rocsparse_index_base_PKT2_PKiPiS4_
; %bb.0:
	s_load_dwordx2 s[8:9], s[4:5], 0x0
	v_lshrrev_b32_e32 v1, 3, v0
	v_lshl_or_b32 v1, s6, 7, v1
	s_waitcnt lgkmcnt(0)
	v_cmp_gt_i32_e32 vcc, s8, v1
	s_and_saveexec_b64 s[0:1], vcc
	s_cbranch_execz .LBB20_22
; %bb.1:
	s_load_dwordx4 s[0:3], s[4:5], 0x10
	v_ashrrev_i32_e32 v2, 31, v1
	v_lshlrev_b64 v[4:5], 2, v[1:2]
	v_and_b32_e32 v0, 7, v0
	v_subrev_u32_e32 v0, s9, v0
	s_waitcnt lgkmcnt(0)
	v_mov_b32_e32 v2, s1
	v_add_co_u32_e32 v1, vcc, s0, v4
	v_addc_co_u32_e32 v2, vcc, v2, v5, vcc
	global_load_dwordx2 v[1:2], v[1:2], off
	v_mov_b32_e32 v14, 0
	s_waitcnt vmcnt(0)
	v_subrev_u32_e32 v13, s9, v2
	v_add_u32_e32 v6, v1, v0
	v_cmp_lt_i32_e32 vcc, v6, v13
	s_and_saveexec_b64 s[6:7], vcc
	s_cbranch_execz .LBB20_21
; %bb.2:
	s_load_dwordx2 s[0:1], s[4:5], 0x8
	s_load_dwordx2 s[8:9], s[4:5], 0x20
	v_ashrrev_i32_e32 v7, 31, v6
	v_lshlrev_b64 v[0:1], 4, v[6:7]
	s_mov_b32 s10, 0
	s_waitcnt lgkmcnt(0)
	v_mov_b32_e32 v2, s1
	v_add_co_u32_e32 v0, vcc, s0, v0
	v_addc_co_u32_e32 v1, vcc, v2, v1, vcc
	v_add_co_u32_e32 v7, vcc, 8, v0
	s_mov_b32 s12, 0
	v_addc_co_u32_e32 v8, vcc, 0, v1, vcc
	v_mov_b32_e32 v14, 0
	s_mov_b64 s[4:5], 0
	s_brev_b32 s11, 8
	v_mov_b32_e32 v15, 0x260
	s_mov_b32 s13, 0x38100000
	v_mov_b32_e32 v16, 0x100
	v_mov_b32_e32 v17, 0xffffff80
	s_branch .LBB20_5
.LBB20_3:                               ;   in Loop: Header=BB20_5 Depth=1
	s_or_b64 exec, exec, s[0:1]
.LBB20_4:                               ;   in Loop: Header=BB20_5 Depth=1
	s_or_b64 exec, exec, s[14:15]
	v_add_u32_e32 v6, 8, v6
	v_add_co_u32_e32 v7, vcc, 0x80, v7
	v_cmp_ge_i32_e64 s[0:1], v6, v13
	s_or_b64 s[4:5], s[0:1], s[4:5]
	v_addc_co_u32_e32 v8, vcc, 0, v8, vcc
	s_andn2_b64 exec, exec, s[4:5]
	s_cbranch_execz .LBB20_20
.LBB20_5:                               ; =>This Inner Loop Header: Depth=1
	global_load_dwordx4 v[0:3], v[7:8], off offset:-8
                                        ; implicit-def: $vgpr11_vgpr12
	s_waitcnt vmcnt(0)
	v_cmp_gt_f64_e32 vcc, 0, v[0:1]
	v_xor_b32_e32 v9, 0x80000000, v1
	v_xor_b32_e32 v10, 0x80000000, v3
	v_cndmask_b32_e32 v1, v1, v9, vcc
	v_cmp_gt_f64_e32 vcc, 0, v[2:3]
	v_mov_b32_e32 v9, v2
	v_cndmask_b32_e32 v10, v3, v10, vcc
	v_cmp_ngt_f64_e64 s[0:1], v[0:1], v[9:10]
	s_and_saveexec_b64 s[14:15], s[0:1]
	s_xor_b64 s[14:15], exec, s[14:15]
	s_cbranch_execnz .LBB20_8
; %bb.6:                                ;   in Loop: Header=BB20_5 Depth=1
	s_andn2_saveexec_b64 s[14:15], s[14:15]
	s_cbranch_execnz .LBB20_11
.LBB20_7:                               ;   in Loop: Header=BB20_5 Depth=1
	s_or_b64 exec, exec, s[14:15]
	v_cmp_lt_f64_e32 vcc, s[8:9], v[11:12]
	s_and_saveexec_b64 s[14:15], vcc
	s_cbranch_execz .LBB20_4
	s_branch .LBB20_12
.LBB20_8:                               ;   in Loop: Header=BB20_5 Depth=1
	v_cmp_neq_f64_e32 vcc, 0, v[2:3]
	v_mov_b32_e32 v11, 0
	v_mov_b32_e32 v12, 0
	s_and_saveexec_b64 s[16:17], vcc
	s_cbranch_execz .LBB20_10
; %bb.9:                                ;   in Loop: Header=BB20_5 Depth=1
	v_div_scale_f64 v[11:12], s[18:19], v[9:10], v[9:10], v[0:1]
	v_rcp_f64_e32 v[18:19], v[11:12]
	v_fma_f64 v[20:21], -v[11:12], v[18:19], 1.0
	v_fma_f64 v[18:19], v[18:19], v[20:21], v[18:19]
	v_div_scale_f64 v[20:21], vcc, v[0:1], v[9:10], v[0:1]
	v_fma_f64 v[22:23], -v[11:12], v[18:19], 1.0
	v_fma_f64 v[18:19], v[18:19], v[22:23], v[18:19]
	v_mul_f64 v[22:23], v[20:21], v[18:19]
	v_fma_f64 v[11:12], -v[11:12], v[22:23], v[20:21]
	v_div_fmas_f64 v[11:12], v[11:12], v[18:19], v[22:23]
	v_div_fixup_f64 v[11:12], v[11:12], v[9:10], v[0:1]
	v_fma_f64 v[11:12], v[11:12], v[11:12], 1.0
	v_cmp_gt_f64_e32 vcc, s[10:11], v[11:12]
	v_cndmask_b32_e32 v18, 0, v16, vcc
	v_ldexp_f64 v[11:12], v[11:12], v18
	v_rsq_f64_e32 v[18:19], v[11:12]
	v_mul_f64 v[20:21], v[11:12], v[18:19]
	v_mul_f64 v[18:19], v[18:19], 0.5
	v_fma_f64 v[22:23], -v[18:19], v[20:21], 0.5
	v_fma_f64 v[20:21], v[20:21], v[22:23], v[20:21]
	v_fma_f64 v[18:19], v[18:19], v[22:23], v[18:19]
	v_fma_f64 v[22:23], -v[20:21], v[20:21], v[11:12]
	v_fma_f64 v[20:21], v[22:23], v[18:19], v[20:21]
	v_fma_f64 v[22:23], -v[20:21], v[20:21], v[11:12]
	v_fma_f64 v[18:19], v[22:23], v[18:19], v[20:21]
	v_cndmask_b32_e32 v20, 0, v17, vcc
	v_cmp_class_f64_e32 vcc, v[11:12], v15
	v_ldexp_f64 v[18:19], v[18:19], v20
	v_cndmask_b32_e32 v12, v19, v12, vcc
	v_cndmask_b32_e32 v11, v18, v11, vcc
	v_mul_f64 v[11:12], v[9:10], v[11:12]
.LBB20_10:                              ;   in Loop: Header=BB20_5 Depth=1
	s_or_b64 exec, exec, s[16:17]
	s_andn2_saveexec_b64 s[14:15], s[14:15]
	s_cbranch_execz .LBB20_7
.LBB20_11:                              ;   in Loop: Header=BB20_5 Depth=1
	v_div_scale_f64 v[11:12], s[16:17], v[0:1], v[0:1], v[9:10]
	v_rcp_f64_e32 v[18:19], v[11:12]
	v_fma_f64 v[20:21], -v[11:12], v[18:19], 1.0
	v_fma_f64 v[18:19], v[18:19], v[20:21], v[18:19]
	v_div_scale_f64 v[20:21], vcc, v[9:10], v[0:1], v[9:10]
	v_fma_f64 v[22:23], -v[11:12], v[18:19], 1.0
	v_fma_f64 v[18:19], v[18:19], v[22:23], v[18:19]
	v_mul_f64 v[22:23], v[20:21], v[18:19]
	v_fma_f64 v[11:12], -v[11:12], v[22:23], v[20:21]
	v_div_fmas_f64 v[11:12], v[11:12], v[18:19], v[22:23]
	v_div_fixup_f64 v[11:12], v[11:12], v[0:1], v[9:10]
	v_fma_f64 v[11:12], v[11:12], v[11:12], 1.0
	v_cmp_gt_f64_e32 vcc, s[10:11], v[11:12]
	v_cndmask_b32_e32 v18, 0, v16, vcc
	v_ldexp_f64 v[11:12], v[11:12], v18
	v_rsq_f64_e32 v[18:19], v[11:12]
	v_mul_f64 v[20:21], v[11:12], v[18:19]
	v_mul_f64 v[18:19], v[18:19], 0.5
	v_fma_f64 v[22:23], -v[18:19], v[20:21], 0.5
	v_fma_f64 v[20:21], v[20:21], v[22:23], v[20:21]
	v_fma_f64 v[18:19], v[18:19], v[22:23], v[18:19]
	v_fma_f64 v[22:23], -v[20:21], v[20:21], v[11:12]
	v_fma_f64 v[20:21], v[22:23], v[18:19], v[20:21]
	v_fma_f64 v[22:23], -v[20:21], v[20:21], v[11:12]
	v_fma_f64 v[18:19], v[22:23], v[18:19], v[20:21]
	v_cndmask_b32_e32 v20, 0, v17, vcc
	v_cmp_class_f64_e32 vcc, v[11:12], v15
	v_ldexp_f64 v[18:19], v[18:19], v20
	v_cndmask_b32_e32 v12, v19, v12, vcc
	v_cndmask_b32_e32 v11, v18, v11, vcc
	v_mul_f64 v[11:12], v[0:1], v[11:12]
	s_or_b64 exec, exec, s[14:15]
	v_cmp_lt_f64_e32 vcc, s[8:9], v[11:12]
	s_and_saveexec_b64 s[14:15], vcc
	s_cbranch_execz .LBB20_4
.LBB20_12:                              ;   in Loop: Header=BB20_5 Depth=1
                                        ; implicit-def: $vgpr11_vgpr12
	s_and_saveexec_b64 s[16:17], s[0:1]
	s_xor_b64 s[0:1], exec, s[16:17]
	s_cbranch_execnz .LBB20_15
; %bb.13:                               ;   in Loop: Header=BB20_5 Depth=1
	s_andn2_saveexec_b64 s[0:1], s[0:1]
	s_cbranch_execnz .LBB20_18
.LBB20_14:                              ;   in Loop: Header=BB20_5 Depth=1
	s_or_b64 exec, exec, s[0:1]
	v_cmp_lt_f64_e32 vcc, s[12:13], v[11:12]
	s_and_saveexec_b64 s[0:1], vcc
	s_cbranch_execz .LBB20_3
	s_branch .LBB20_19
.LBB20_15:                              ;   in Loop: Header=BB20_5 Depth=1
	v_cmp_neq_f64_e32 vcc, 0, v[2:3]
	v_mov_b32_e32 v11, 0
	v_mov_b32_e32 v12, 0
	s_and_saveexec_b64 s[16:17], vcc
	s_cbranch_execz .LBB20_17
; %bb.16:                               ;   in Loop: Header=BB20_5 Depth=1
	v_div_scale_f64 v[2:3], s[18:19], v[9:10], v[9:10], v[0:1]
	v_rcp_f64_e32 v[11:12], v[2:3]
	v_fma_f64 v[18:19], -v[2:3], v[11:12], 1.0
	v_fma_f64 v[11:12], v[11:12], v[18:19], v[11:12]
	v_div_scale_f64 v[18:19], vcc, v[0:1], v[9:10], v[0:1]
	v_fma_f64 v[20:21], -v[2:3], v[11:12], 1.0
	v_fma_f64 v[11:12], v[11:12], v[20:21], v[11:12]
	v_mul_f64 v[20:21], v[18:19], v[11:12]
	v_fma_f64 v[2:3], -v[2:3], v[20:21], v[18:19]
	v_div_fmas_f64 v[2:3], v[2:3], v[11:12], v[20:21]
	v_div_fixup_f64 v[0:1], v[2:3], v[9:10], v[0:1]
	v_fma_f64 v[0:1], v[0:1], v[0:1], 1.0
	v_cmp_gt_f64_e32 vcc, s[10:11], v[0:1]
	v_cndmask_b32_e32 v2, 0, v16, vcc
	v_ldexp_f64 v[0:1], v[0:1], v2
	v_rsq_f64_e32 v[2:3], v[0:1]
	v_mul_f64 v[11:12], v[0:1], v[2:3]
	v_mul_f64 v[2:3], v[2:3], 0.5
	v_fma_f64 v[18:19], -v[2:3], v[11:12], 0.5
	v_fma_f64 v[11:12], v[11:12], v[18:19], v[11:12]
	v_fma_f64 v[2:3], v[2:3], v[18:19], v[2:3]
	v_fma_f64 v[18:19], -v[11:12], v[11:12], v[0:1]
	v_fma_f64 v[11:12], v[18:19], v[2:3], v[11:12]
	v_fma_f64 v[18:19], -v[11:12], v[11:12], v[0:1]
	v_fma_f64 v[2:3], v[18:19], v[2:3], v[11:12]
	v_cndmask_b32_e32 v11, 0, v17, vcc
	v_cmp_class_f64_e32 vcc, v[0:1], v15
	v_ldexp_f64 v[2:3], v[2:3], v11
	v_cndmask_b32_e32 v1, v3, v1, vcc
	v_cndmask_b32_e32 v0, v2, v0, vcc
	v_mul_f64 v[11:12], v[9:10], v[0:1]
.LBB20_17:                              ;   in Loop: Header=BB20_5 Depth=1
	s_or_b64 exec, exec, s[16:17]
                                        ; implicit-def: $vgpr0_vgpr1
                                        ; implicit-def: $vgpr9_vgpr10
	s_andn2_saveexec_b64 s[0:1], s[0:1]
	s_cbranch_execz .LBB20_14
.LBB20_18:                              ;   in Loop: Header=BB20_5 Depth=1
	v_div_scale_f64 v[2:3], s[16:17], v[0:1], v[0:1], v[9:10]
	v_rcp_f64_e32 v[11:12], v[2:3]
	v_fma_f64 v[18:19], -v[2:3], v[11:12], 1.0
	v_fma_f64 v[11:12], v[11:12], v[18:19], v[11:12]
	v_div_scale_f64 v[18:19], vcc, v[9:10], v[0:1], v[9:10]
	v_fma_f64 v[20:21], -v[2:3], v[11:12], 1.0
	v_fma_f64 v[11:12], v[11:12], v[20:21], v[11:12]
	v_mul_f64 v[20:21], v[18:19], v[11:12]
	v_fma_f64 v[2:3], -v[2:3], v[20:21], v[18:19]
	v_div_fmas_f64 v[2:3], v[2:3], v[11:12], v[20:21]
	v_div_fixup_f64 v[2:3], v[2:3], v[0:1], v[9:10]
	v_fma_f64 v[2:3], v[2:3], v[2:3], 1.0
	v_cmp_gt_f64_e32 vcc, s[10:11], v[2:3]
	v_cndmask_b32_e32 v9, 0, v16, vcc
	v_ldexp_f64 v[2:3], v[2:3], v9
	v_rsq_f64_e32 v[9:10], v[2:3]
	v_mul_f64 v[11:12], v[2:3], v[9:10]
	v_mul_f64 v[9:10], v[9:10], 0.5
	v_fma_f64 v[18:19], -v[9:10], v[11:12], 0.5
	v_fma_f64 v[11:12], v[11:12], v[18:19], v[11:12]
	v_fma_f64 v[9:10], v[9:10], v[18:19], v[9:10]
	v_fma_f64 v[18:19], -v[11:12], v[11:12], v[2:3]
	v_fma_f64 v[11:12], v[18:19], v[9:10], v[11:12]
	v_fma_f64 v[18:19], -v[11:12], v[11:12], v[2:3]
	v_fma_f64 v[9:10], v[18:19], v[9:10], v[11:12]
	v_cndmask_b32_e32 v11, 0, v17, vcc
	v_cmp_class_f64_e32 vcc, v[2:3], v15
	v_ldexp_f64 v[9:10], v[9:10], v11
	v_cndmask_b32_e32 v3, v10, v3, vcc
	v_cndmask_b32_e32 v2, v9, v2, vcc
	v_mul_f64 v[11:12], v[0:1], v[2:3]
	s_or_b64 exec, exec, s[0:1]
	v_cmp_lt_f64_e32 vcc, s[12:13], v[11:12]
	s_and_saveexec_b64 s[0:1], vcc
	s_cbranch_execz .LBB20_3
.LBB20_19:                              ;   in Loop: Header=BB20_5 Depth=1
	v_add_u32_e32 v14, 1, v14
	s_branch .LBB20_3
.LBB20_20:
	s_or_b64 exec, exec, s[4:5]
.LBB20_21:
	s_or_b64 exec, exec, s[6:7]
	v_mov_b32_dpp v0, v14 row_shr:1 row_mask:0xf bank_mask:0xf
	v_add_u32_e32 v0, v0, v14
	s_nop 1
	v_mov_b32_dpp v1, v0 row_shr:2 row_mask:0xf bank_mask:0xf
	v_add_u32_e32 v0, v0, v1
	s_nop 1
	v_mov_b32_dpp v1, v0 row_shr:4 row_mask:0xf bank_mask:0xe
	v_add_u32_e32 v0, v0, v1
	v_mbcnt_lo_u32_b32 v1, -1, 0
	v_mbcnt_hi_u32_b32 v1, -1, v1
	v_lshl_or_b32 v1, v1, 2, 28
	ds_bpermute_b32 v2, v1, v0
	v_mov_b32_e32 v1, s3
	v_add_co_u32_e32 v0, vcc, s2, v4
	v_addc_co_u32_e32 v1, vcc, v1, v5, vcc
	s_waitcnt lgkmcnt(0)
	global_store_dword v[0:1], v2, off
.LBB20_22:
	s_endpgm
	.section	.rodata,"a",@progbits
	.p2align	6, 0x0
	.amdhsa_kernel _ZN9rocsparseL19nnz_compress_kernelILi1024ELi128ELi8E21rocsparse_complex_numIdEEEvi21rocsparse_index_base_PKT2_PKiPiS4_
		.amdhsa_group_segment_fixed_size 0
		.amdhsa_private_segment_fixed_size 0
		.amdhsa_kernarg_size 48
		.amdhsa_user_sgpr_count 6
		.amdhsa_user_sgpr_private_segment_buffer 1
		.amdhsa_user_sgpr_dispatch_ptr 0
		.amdhsa_user_sgpr_queue_ptr 0
		.amdhsa_user_sgpr_kernarg_segment_ptr 1
		.amdhsa_user_sgpr_dispatch_id 0
		.amdhsa_user_sgpr_flat_scratch_init 0
		.amdhsa_user_sgpr_private_segment_size 0
		.amdhsa_uses_dynamic_stack 0
		.amdhsa_system_sgpr_private_segment_wavefront_offset 0
		.amdhsa_system_sgpr_workgroup_id_x 1
		.amdhsa_system_sgpr_workgroup_id_y 0
		.amdhsa_system_sgpr_workgroup_id_z 0
		.amdhsa_system_sgpr_workgroup_info 0
		.amdhsa_system_vgpr_workitem_id 0
		.amdhsa_next_free_vgpr 24
		.amdhsa_next_free_sgpr 20
		.amdhsa_reserve_vcc 1
		.amdhsa_reserve_flat_scratch 0
		.amdhsa_float_round_mode_32 0
		.amdhsa_float_round_mode_16_64 0
		.amdhsa_float_denorm_mode_32 3
		.amdhsa_float_denorm_mode_16_64 3
		.amdhsa_dx10_clamp 1
		.amdhsa_ieee_mode 1
		.amdhsa_fp16_overflow 0
		.amdhsa_exception_fp_ieee_invalid_op 0
		.amdhsa_exception_fp_denorm_src 0
		.amdhsa_exception_fp_ieee_div_zero 0
		.amdhsa_exception_fp_ieee_overflow 0
		.amdhsa_exception_fp_ieee_underflow 0
		.amdhsa_exception_fp_ieee_inexact 0
		.amdhsa_exception_int_div_zero 0
	.end_amdhsa_kernel
	.section	.text._ZN9rocsparseL19nnz_compress_kernelILi1024ELi128ELi8E21rocsparse_complex_numIdEEEvi21rocsparse_index_base_PKT2_PKiPiS4_,"axG",@progbits,_ZN9rocsparseL19nnz_compress_kernelILi1024ELi128ELi8E21rocsparse_complex_numIdEEEvi21rocsparse_index_base_PKT2_PKiPiS4_,comdat
.Lfunc_end20:
	.size	_ZN9rocsparseL19nnz_compress_kernelILi1024ELi128ELi8E21rocsparse_complex_numIdEEEvi21rocsparse_index_base_PKT2_PKiPiS4_, .Lfunc_end20-_ZN9rocsparseL19nnz_compress_kernelILi1024ELi128ELi8E21rocsparse_complex_numIdEEEvi21rocsparse_index_base_PKT2_PKiPiS4_
                                        ; -- End function
	.set _ZN9rocsparseL19nnz_compress_kernelILi1024ELi128ELi8E21rocsparse_complex_numIdEEEvi21rocsparse_index_base_PKT2_PKiPiS4_.num_vgpr, 24
	.set _ZN9rocsparseL19nnz_compress_kernelILi1024ELi128ELi8E21rocsparse_complex_numIdEEEvi21rocsparse_index_base_PKT2_PKiPiS4_.num_agpr, 0
	.set _ZN9rocsparseL19nnz_compress_kernelILi1024ELi128ELi8E21rocsparse_complex_numIdEEEvi21rocsparse_index_base_PKT2_PKiPiS4_.numbered_sgpr, 20
	.set _ZN9rocsparseL19nnz_compress_kernelILi1024ELi128ELi8E21rocsparse_complex_numIdEEEvi21rocsparse_index_base_PKT2_PKiPiS4_.num_named_barrier, 0
	.set _ZN9rocsparseL19nnz_compress_kernelILi1024ELi128ELi8E21rocsparse_complex_numIdEEEvi21rocsparse_index_base_PKT2_PKiPiS4_.private_seg_size, 0
	.set _ZN9rocsparseL19nnz_compress_kernelILi1024ELi128ELi8E21rocsparse_complex_numIdEEEvi21rocsparse_index_base_PKT2_PKiPiS4_.uses_vcc, 1
	.set _ZN9rocsparseL19nnz_compress_kernelILi1024ELi128ELi8E21rocsparse_complex_numIdEEEvi21rocsparse_index_base_PKT2_PKiPiS4_.uses_flat_scratch, 0
	.set _ZN9rocsparseL19nnz_compress_kernelILi1024ELi128ELi8E21rocsparse_complex_numIdEEEvi21rocsparse_index_base_PKT2_PKiPiS4_.has_dyn_sized_stack, 0
	.set _ZN9rocsparseL19nnz_compress_kernelILi1024ELi128ELi8E21rocsparse_complex_numIdEEEvi21rocsparse_index_base_PKT2_PKiPiS4_.has_recursion, 0
	.set _ZN9rocsparseL19nnz_compress_kernelILi1024ELi128ELi8E21rocsparse_complex_numIdEEEvi21rocsparse_index_base_PKT2_PKiPiS4_.has_indirect_call, 0
	.section	.AMDGPU.csdata,"",@progbits
; Kernel info:
; codeLenInByte = 1484
; TotalNumSgprs: 24
; NumVgprs: 24
; ScratchSize: 0
; MemoryBound: 0
; FloatMode: 240
; IeeeMode: 1
; LDSByteSize: 0 bytes/workgroup (compile time only)
; SGPRBlocks: 2
; VGPRBlocks: 5
; NumSGPRsForWavesPerEU: 24
; NumVGPRsForWavesPerEU: 24
; Occupancy: 10
; WaveLimiterHint : 0
; COMPUTE_PGM_RSRC2:SCRATCH_EN: 0
; COMPUTE_PGM_RSRC2:USER_SGPR: 6
; COMPUTE_PGM_RSRC2:TRAP_HANDLER: 0
; COMPUTE_PGM_RSRC2:TGID_X_EN: 1
; COMPUTE_PGM_RSRC2:TGID_Y_EN: 0
; COMPUTE_PGM_RSRC2:TGID_Z_EN: 0
; COMPUTE_PGM_RSRC2:TIDIG_COMP_CNT: 0
	.section	.text._ZN9rocsparseL19nnz_compress_kernelILi1024ELi64ELi16E21rocsparse_complex_numIdEEEvi21rocsparse_index_base_PKT2_PKiPiS4_,"axG",@progbits,_ZN9rocsparseL19nnz_compress_kernelILi1024ELi64ELi16E21rocsparse_complex_numIdEEEvi21rocsparse_index_base_PKT2_PKiPiS4_,comdat
	.globl	_ZN9rocsparseL19nnz_compress_kernelILi1024ELi64ELi16E21rocsparse_complex_numIdEEEvi21rocsparse_index_base_PKT2_PKiPiS4_ ; -- Begin function _ZN9rocsparseL19nnz_compress_kernelILi1024ELi64ELi16E21rocsparse_complex_numIdEEEvi21rocsparse_index_base_PKT2_PKiPiS4_
	.p2align	8
	.type	_ZN9rocsparseL19nnz_compress_kernelILi1024ELi64ELi16E21rocsparse_complex_numIdEEEvi21rocsparse_index_base_PKT2_PKiPiS4_,@function
_ZN9rocsparseL19nnz_compress_kernelILi1024ELi64ELi16E21rocsparse_complex_numIdEEEvi21rocsparse_index_base_PKT2_PKiPiS4_: ; @_ZN9rocsparseL19nnz_compress_kernelILi1024ELi64ELi16E21rocsparse_complex_numIdEEEvi21rocsparse_index_base_PKT2_PKiPiS4_
; %bb.0:
	s_load_dwordx2 s[8:9], s[4:5], 0x0
	v_lshrrev_b32_e32 v1, 4, v0
	v_lshl_or_b32 v1, s6, 6, v1
	s_waitcnt lgkmcnt(0)
	v_cmp_gt_i32_e32 vcc, s8, v1
	s_and_saveexec_b64 s[0:1], vcc
	s_cbranch_execz .LBB21_22
; %bb.1:
	s_load_dwordx4 s[0:3], s[4:5], 0x10
	v_ashrrev_i32_e32 v2, 31, v1
	v_lshlrev_b64 v[4:5], 2, v[1:2]
	v_and_b32_e32 v0, 15, v0
	v_subrev_u32_e32 v0, s9, v0
	s_waitcnt lgkmcnt(0)
	v_mov_b32_e32 v2, s1
	v_add_co_u32_e32 v1, vcc, s0, v4
	v_addc_co_u32_e32 v2, vcc, v2, v5, vcc
	global_load_dwordx2 v[1:2], v[1:2], off
	v_mov_b32_e32 v14, 0
	s_waitcnt vmcnt(0)
	v_subrev_u32_e32 v13, s9, v2
	v_add_u32_e32 v6, v1, v0
	v_cmp_lt_i32_e32 vcc, v6, v13
	s_and_saveexec_b64 s[6:7], vcc
	s_cbranch_execz .LBB21_21
; %bb.2:
	s_load_dwordx2 s[0:1], s[4:5], 0x8
	s_load_dwordx2 s[8:9], s[4:5], 0x20
	v_ashrrev_i32_e32 v7, 31, v6
	v_lshlrev_b64 v[0:1], 4, v[6:7]
	s_mov_b32 s10, 0
	s_waitcnt lgkmcnt(0)
	v_mov_b32_e32 v2, s1
	v_add_co_u32_e32 v0, vcc, s0, v0
	v_addc_co_u32_e32 v1, vcc, v2, v1, vcc
	v_add_co_u32_e32 v7, vcc, 8, v0
	s_mov_b32 s12, 0
	v_addc_co_u32_e32 v8, vcc, 0, v1, vcc
	v_mov_b32_e32 v14, 0
	s_mov_b64 s[4:5], 0
	s_brev_b32 s11, 8
	v_mov_b32_e32 v15, 0x260
	s_mov_b32 s13, 0x38100000
	v_mov_b32_e32 v16, 0x100
	v_mov_b32_e32 v17, 0xffffff80
	s_branch .LBB21_5
.LBB21_3:                               ;   in Loop: Header=BB21_5 Depth=1
	s_or_b64 exec, exec, s[0:1]
.LBB21_4:                               ;   in Loop: Header=BB21_5 Depth=1
	s_or_b64 exec, exec, s[14:15]
	v_add_u32_e32 v6, 16, v6
	v_add_co_u32_e32 v7, vcc, 0x100, v7
	v_cmp_ge_i32_e64 s[0:1], v6, v13
	s_or_b64 s[4:5], s[0:1], s[4:5]
	v_addc_co_u32_e32 v8, vcc, 0, v8, vcc
	s_andn2_b64 exec, exec, s[4:5]
	s_cbranch_execz .LBB21_20
.LBB21_5:                               ; =>This Inner Loop Header: Depth=1
	global_load_dwordx4 v[0:3], v[7:8], off offset:-8
                                        ; implicit-def: $vgpr11_vgpr12
	s_waitcnt vmcnt(0)
	v_cmp_gt_f64_e32 vcc, 0, v[0:1]
	v_xor_b32_e32 v9, 0x80000000, v1
	v_xor_b32_e32 v10, 0x80000000, v3
	v_cndmask_b32_e32 v1, v1, v9, vcc
	v_cmp_gt_f64_e32 vcc, 0, v[2:3]
	v_mov_b32_e32 v9, v2
	v_cndmask_b32_e32 v10, v3, v10, vcc
	v_cmp_ngt_f64_e64 s[0:1], v[0:1], v[9:10]
	s_and_saveexec_b64 s[14:15], s[0:1]
	s_xor_b64 s[14:15], exec, s[14:15]
	s_cbranch_execnz .LBB21_8
; %bb.6:                                ;   in Loop: Header=BB21_5 Depth=1
	s_andn2_saveexec_b64 s[14:15], s[14:15]
	s_cbranch_execnz .LBB21_11
.LBB21_7:                               ;   in Loop: Header=BB21_5 Depth=1
	s_or_b64 exec, exec, s[14:15]
	v_cmp_lt_f64_e32 vcc, s[8:9], v[11:12]
	s_and_saveexec_b64 s[14:15], vcc
	s_cbranch_execz .LBB21_4
	s_branch .LBB21_12
.LBB21_8:                               ;   in Loop: Header=BB21_5 Depth=1
	v_cmp_neq_f64_e32 vcc, 0, v[2:3]
	v_mov_b32_e32 v11, 0
	v_mov_b32_e32 v12, 0
	s_and_saveexec_b64 s[16:17], vcc
	s_cbranch_execz .LBB21_10
; %bb.9:                                ;   in Loop: Header=BB21_5 Depth=1
	v_div_scale_f64 v[11:12], s[18:19], v[9:10], v[9:10], v[0:1]
	v_rcp_f64_e32 v[18:19], v[11:12]
	v_fma_f64 v[20:21], -v[11:12], v[18:19], 1.0
	v_fma_f64 v[18:19], v[18:19], v[20:21], v[18:19]
	v_div_scale_f64 v[20:21], vcc, v[0:1], v[9:10], v[0:1]
	v_fma_f64 v[22:23], -v[11:12], v[18:19], 1.0
	v_fma_f64 v[18:19], v[18:19], v[22:23], v[18:19]
	v_mul_f64 v[22:23], v[20:21], v[18:19]
	v_fma_f64 v[11:12], -v[11:12], v[22:23], v[20:21]
	v_div_fmas_f64 v[11:12], v[11:12], v[18:19], v[22:23]
	v_div_fixup_f64 v[11:12], v[11:12], v[9:10], v[0:1]
	v_fma_f64 v[11:12], v[11:12], v[11:12], 1.0
	v_cmp_gt_f64_e32 vcc, s[10:11], v[11:12]
	v_cndmask_b32_e32 v18, 0, v16, vcc
	v_ldexp_f64 v[11:12], v[11:12], v18
	v_rsq_f64_e32 v[18:19], v[11:12]
	v_mul_f64 v[20:21], v[11:12], v[18:19]
	v_mul_f64 v[18:19], v[18:19], 0.5
	v_fma_f64 v[22:23], -v[18:19], v[20:21], 0.5
	v_fma_f64 v[20:21], v[20:21], v[22:23], v[20:21]
	v_fma_f64 v[18:19], v[18:19], v[22:23], v[18:19]
	v_fma_f64 v[22:23], -v[20:21], v[20:21], v[11:12]
	v_fma_f64 v[20:21], v[22:23], v[18:19], v[20:21]
	v_fma_f64 v[22:23], -v[20:21], v[20:21], v[11:12]
	v_fma_f64 v[18:19], v[22:23], v[18:19], v[20:21]
	v_cndmask_b32_e32 v20, 0, v17, vcc
	v_cmp_class_f64_e32 vcc, v[11:12], v15
	v_ldexp_f64 v[18:19], v[18:19], v20
	v_cndmask_b32_e32 v12, v19, v12, vcc
	v_cndmask_b32_e32 v11, v18, v11, vcc
	v_mul_f64 v[11:12], v[9:10], v[11:12]
.LBB21_10:                              ;   in Loop: Header=BB21_5 Depth=1
	s_or_b64 exec, exec, s[16:17]
	s_andn2_saveexec_b64 s[14:15], s[14:15]
	s_cbranch_execz .LBB21_7
.LBB21_11:                              ;   in Loop: Header=BB21_5 Depth=1
	v_div_scale_f64 v[11:12], s[16:17], v[0:1], v[0:1], v[9:10]
	v_rcp_f64_e32 v[18:19], v[11:12]
	v_fma_f64 v[20:21], -v[11:12], v[18:19], 1.0
	v_fma_f64 v[18:19], v[18:19], v[20:21], v[18:19]
	v_div_scale_f64 v[20:21], vcc, v[9:10], v[0:1], v[9:10]
	v_fma_f64 v[22:23], -v[11:12], v[18:19], 1.0
	v_fma_f64 v[18:19], v[18:19], v[22:23], v[18:19]
	v_mul_f64 v[22:23], v[20:21], v[18:19]
	v_fma_f64 v[11:12], -v[11:12], v[22:23], v[20:21]
	v_div_fmas_f64 v[11:12], v[11:12], v[18:19], v[22:23]
	v_div_fixup_f64 v[11:12], v[11:12], v[0:1], v[9:10]
	v_fma_f64 v[11:12], v[11:12], v[11:12], 1.0
	v_cmp_gt_f64_e32 vcc, s[10:11], v[11:12]
	v_cndmask_b32_e32 v18, 0, v16, vcc
	v_ldexp_f64 v[11:12], v[11:12], v18
	v_rsq_f64_e32 v[18:19], v[11:12]
	v_mul_f64 v[20:21], v[11:12], v[18:19]
	v_mul_f64 v[18:19], v[18:19], 0.5
	v_fma_f64 v[22:23], -v[18:19], v[20:21], 0.5
	v_fma_f64 v[20:21], v[20:21], v[22:23], v[20:21]
	v_fma_f64 v[18:19], v[18:19], v[22:23], v[18:19]
	v_fma_f64 v[22:23], -v[20:21], v[20:21], v[11:12]
	v_fma_f64 v[20:21], v[22:23], v[18:19], v[20:21]
	v_fma_f64 v[22:23], -v[20:21], v[20:21], v[11:12]
	v_fma_f64 v[18:19], v[22:23], v[18:19], v[20:21]
	v_cndmask_b32_e32 v20, 0, v17, vcc
	v_cmp_class_f64_e32 vcc, v[11:12], v15
	v_ldexp_f64 v[18:19], v[18:19], v20
	v_cndmask_b32_e32 v12, v19, v12, vcc
	v_cndmask_b32_e32 v11, v18, v11, vcc
	v_mul_f64 v[11:12], v[0:1], v[11:12]
	s_or_b64 exec, exec, s[14:15]
	v_cmp_lt_f64_e32 vcc, s[8:9], v[11:12]
	s_and_saveexec_b64 s[14:15], vcc
	s_cbranch_execz .LBB21_4
.LBB21_12:                              ;   in Loop: Header=BB21_5 Depth=1
                                        ; implicit-def: $vgpr11_vgpr12
	s_and_saveexec_b64 s[16:17], s[0:1]
	s_xor_b64 s[0:1], exec, s[16:17]
	s_cbranch_execnz .LBB21_15
; %bb.13:                               ;   in Loop: Header=BB21_5 Depth=1
	s_andn2_saveexec_b64 s[0:1], s[0:1]
	s_cbranch_execnz .LBB21_18
.LBB21_14:                              ;   in Loop: Header=BB21_5 Depth=1
	s_or_b64 exec, exec, s[0:1]
	v_cmp_lt_f64_e32 vcc, s[12:13], v[11:12]
	s_and_saveexec_b64 s[0:1], vcc
	s_cbranch_execz .LBB21_3
	s_branch .LBB21_19
.LBB21_15:                              ;   in Loop: Header=BB21_5 Depth=1
	v_cmp_neq_f64_e32 vcc, 0, v[2:3]
	v_mov_b32_e32 v11, 0
	v_mov_b32_e32 v12, 0
	s_and_saveexec_b64 s[16:17], vcc
	s_cbranch_execz .LBB21_17
; %bb.16:                               ;   in Loop: Header=BB21_5 Depth=1
	v_div_scale_f64 v[2:3], s[18:19], v[9:10], v[9:10], v[0:1]
	v_rcp_f64_e32 v[11:12], v[2:3]
	v_fma_f64 v[18:19], -v[2:3], v[11:12], 1.0
	v_fma_f64 v[11:12], v[11:12], v[18:19], v[11:12]
	v_div_scale_f64 v[18:19], vcc, v[0:1], v[9:10], v[0:1]
	v_fma_f64 v[20:21], -v[2:3], v[11:12], 1.0
	v_fma_f64 v[11:12], v[11:12], v[20:21], v[11:12]
	v_mul_f64 v[20:21], v[18:19], v[11:12]
	v_fma_f64 v[2:3], -v[2:3], v[20:21], v[18:19]
	v_div_fmas_f64 v[2:3], v[2:3], v[11:12], v[20:21]
	v_div_fixup_f64 v[0:1], v[2:3], v[9:10], v[0:1]
	v_fma_f64 v[0:1], v[0:1], v[0:1], 1.0
	v_cmp_gt_f64_e32 vcc, s[10:11], v[0:1]
	v_cndmask_b32_e32 v2, 0, v16, vcc
	v_ldexp_f64 v[0:1], v[0:1], v2
	v_rsq_f64_e32 v[2:3], v[0:1]
	v_mul_f64 v[11:12], v[0:1], v[2:3]
	v_mul_f64 v[2:3], v[2:3], 0.5
	v_fma_f64 v[18:19], -v[2:3], v[11:12], 0.5
	v_fma_f64 v[11:12], v[11:12], v[18:19], v[11:12]
	v_fma_f64 v[2:3], v[2:3], v[18:19], v[2:3]
	v_fma_f64 v[18:19], -v[11:12], v[11:12], v[0:1]
	v_fma_f64 v[11:12], v[18:19], v[2:3], v[11:12]
	v_fma_f64 v[18:19], -v[11:12], v[11:12], v[0:1]
	v_fma_f64 v[2:3], v[18:19], v[2:3], v[11:12]
	v_cndmask_b32_e32 v11, 0, v17, vcc
	v_cmp_class_f64_e32 vcc, v[0:1], v15
	v_ldexp_f64 v[2:3], v[2:3], v11
	v_cndmask_b32_e32 v1, v3, v1, vcc
	v_cndmask_b32_e32 v0, v2, v0, vcc
	v_mul_f64 v[11:12], v[9:10], v[0:1]
.LBB21_17:                              ;   in Loop: Header=BB21_5 Depth=1
	s_or_b64 exec, exec, s[16:17]
                                        ; implicit-def: $vgpr0_vgpr1
                                        ; implicit-def: $vgpr9_vgpr10
	s_andn2_saveexec_b64 s[0:1], s[0:1]
	s_cbranch_execz .LBB21_14
.LBB21_18:                              ;   in Loop: Header=BB21_5 Depth=1
	v_div_scale_f64 v[2:3], s[16:17], v[0:1], v[0:1], v[9:10]
	v_rcp_f64_e32 v[11:12], v[2:3]
	v_fma_f64 v[18:19], -v[2:3], v[11:12], 1.0
	v_fma_f64 v[11:12], v[11:12], v[18:19], v[11:12]
	v_div_scale_f64 v[18:19], vcc, v[9:10], v[0:1], v[9:10]
	v_fma_f64 v[20:21], -v[2:3], v[11:12], 1.0
	v_fma_f64 v[11:12], v[11:12], v[20:21], v[11:12]
	v_mul_f64 v[20:21], v[18:19], v[11:12]
	v_fma_f64 v[2:3], -v[2:3], v[20:21], v[18:19]
	v_div_fmas_f64 v[2:3], v[2:3], v[11:12], v[20:21]
	v_div_fixup_f64 v[2:3], v[2:3], v[0:1], v[9:10]
	v_fma_f64 v[2:3], v[2:3], v[2:3], 1.0
	v_cmp_gt_f64_e32 vcc, s[10:11], v[2:3]
	v_cndmask_b32_e32 v9, 0, v16, vcc
	v_ldexp_f64 v[2:3], v[2:3], v9
	v_rsq_f64_e32 v[9:10], v[2:3]
	v_mul_f64 v[11:12], v[2:3], v[9:10]
	v_mul_f64 v[9:10], v[9:10], 0.5
	v_fma_f64 v[18:19], -v[9:10], v[11:12], 0.5
	v_fma_f64 v[11:12], v[11:12], v[18:19], v[11:12]
	v_fma_f64 v[9:10], v[9:10], v[18:19], v[9:10]
	v_fma_f64 v[18:19], -v[11:12], v[11:12], v[2:3]
	v_fma_f64 v[11:12], v[18:19], v[9:10], v[11:12]
	v_fma_f64 v[18:19], -v[11:12], v[11:12], v[2:3]
	v_fma_f64 v[9:10], v[18:19], v[9:10], v[11:12]
	v_cndmask_b32_e32 v11, 0, v17, vcc
	v_cmp_class_f64_e32 vcc, v[2:3], v15
	v_ldexp_f64 v[9:10], v[9:10], v11
	v_cndmask_b32_e32 v3, v10, v3, vcc
	v_cndmask_b32_e32 v2, v9, v2, vcc
	v_mul_f64 v[11:12], v[0:1], v[2:3]
	s_or_b64 exec, exec, s[0:1]
	v_cmp_lt_f64_e32 vcc, s[12:13], v[11:12]
	s_and_saveexec_b64 s[0:1], vcc
	s_cbranch_execz .LBB21_3
.LBB21_19:                              ;   in Loop: Header=BB21_5 Depth=1
	v_add_u32_e32 v14, 1, v14
	s_branch .LBB21_3
.LBB21_20:
	s_or_b64 exec, exec, s[4:5]
.LBB21_21:
	s_or_b64 exec, exec, s[6:7]
	v_mov_b32_dpp v0, v14 row_shr:1 row_mask:0xf bank_mask:0xf
	v_add_u32_e32 v0, v0, v14
	s_nop 1
	v_mov_b32_dpp v1, v0 row_shr:2 row_mask:0xf bank_mask:0xf
	v_add_u32_e32 v0, v0, v1
	s_nop 1
	;; [unrolled: 3-line block ×3, first 2 shown]
	v_mov_b32_dpp v1, v0 row_shr:8 row_mask:0xf bank_mask:0xc
	v_add_u32_e32 v0, v0, v1
	v_mbcnt_lo_u32_b32 v1, -1, 0
	v_mbcnt_hi_u32_b32 v1, -1, v1
	v_lshl_or_b32 v1, v1, 2, 60
	ds_bpermute_b32 v2, v1, v0
	v_mov_b32_e32 v1, s3
	v_add_co_u32_e32 v0, vcc, s2, v4
	v_addc_co_u32_e32 v1, vcc, v1, v5, vcc
	s_waitcnt lgkmcnt(0)
	global_store_dword v[0:1], v2, off
.LBB21_22:
	s_endpgm
	.section	.rodata,"a",@progbits
	.p2align	6, 0x0
	.amdhsa_kernel _ZN9rocsparseL19nnz_compress_kernelILi1024ELi64ELi16E21rocsparse_complex_numIdEEEvi21rocsparse_index_base_PKT2_PKiPiS4_
		.amdhsa_group_segment_fixed_size 0
		.amdhsa_private_segment_fixed_size 0
		.amdhsa_kernarg_size 48
		.amdhsa_user_sgpr_count 6
		.amdhsa_user_sgpr_private_segment_buffer 1
		.amdhsa_user_sgpr_dispatch_ptr 0
		.amdhsa_user_sgpr_queue_ptr 0
		.amdhsa_user_sgpr_kernarg_segment_ptr 1
		.amdhsa_user_sgpr_dispatch_id 0
		.amdhsa_user_sgpr_flat_scratch_init 0
		.amdhsa_user_sgpr_private_segment_size 0
		.amdhsa_uses_dynamic_stack 0
		.amdhsa_system_sgpr_private_segment_wavefront_offset 0
		.amdhsa_system_sgpr_workgroup_id_x 1
		.amdhsa_system_sgpr_workgroup_id_y 0
		.amdhsa_system_sgpr_workgroup_id_z 0
		.amdhsa_system_sgpr_workgroup_info 0
		.amdhsa_system_vgpr_workitem_id 0
		.amdhsa_next_free_vgpr 24
		.amdhsa_next_free_sgpr 20
		.amdhsa_reserve_vcc 1
		.amdhsa_reserve_flat_scratch 0
		.amdhsa_float_round_mode_32 0
		.amdhsa_float_round_mode_16_64 0
		.amdhsa_float_denorm_mode_32 3
		.amdhsa_float_denorm_mode_16_64 3
		.amdhsa_dx10_clamp 1
		.amdhsa_ieee_mode 1
		.amdhsa_fp16_overflow 0
		.amdhsa_exception_fp_ieee_invalid_op 0
		.amdhsa_exception_fp_denorm_src 0
		.amdhsa_exception_fp_ieee_div_zero 0
		.amdhsa_exception_fp_ieee_overflow 0
		.amdhsa_exception_fp_ieee_underflow 0
		.amdhsa_exception_fp_ieee_inexact 0
		.amdhsa_exception_int_div_zero 0
	.end_amdhsa_kernel
	.section	.text._ZN9rocsparseL19nnz_compress_kernelILi1024ELi64ELi16E21rocsparse_complex_numIdEEEvi21rocsparse_index_base_PKT2_PKiPiS4_,"axG",@progbits,_ZN9rocsparseL19nnz_compress_kernelILi1024ELi64ELi16E21rocsparse_complex_numIdEEEvi21rocsparse_index_base_PKT2_PKiPiS4_,comdat
.Lfunc_end21:
	.size	_ZN9rocsparseL19nnz_compress_kernelILi1024ELi64ELi16E21rocsparse_complex_numIdEEEvi21rocsparse_index_base_PKT2_PKiPiS4_, .Lfunc_end21-_ZN9rocsparseL19nnz_compress_kernelILi1024ELi64ELi16E21rocsparse_complex_numIdEEEvi21rocsparse_index_base_PKT2_PKiPiS4_
                                        ; -- End function
	.set _ZN9rocsparseL19nnz_compress_kernelILi1024ELi64ELi16E21rocsparse_complex_numIdEEEvi21rocsparse_index_base_PKT2_PKiPiS4_.num_vgpr, 24
	.set _ZN9rocsparseL19nnz_compress_kernelILi1024ELi64ELi16E21rocsparse_complex_numIdEEEvi21rocsparse_index_base_PKT2_PKiPiS4_.num_agpr, 0
	.set _ZN9rocsparseL19nnz_compress_kernelILi1024ELi64ELi16E21rocsparse_complex_numIdEEEvi21rocsparse_index_base_PKT2_PKiPiS4_.numbered_sgpr, 20
	.set _ZN9rocsparseL19nnz_compress_kernelILi1024ELi64ELi16E21rocsparse_complex_numIdEEEvi21rocsparse_index_base_PKT2_PKiPiS4_.num_named_barrier, 0
	.set _ZN9rocsparseL19nnz_compress_kernelILi1024ELi64ELi16E21rocsparse_complex_numIdEEEvi21rocsparse_index_base_PKT2_PKiPiS4_.private_seg_size, 0
	.set _ZN9rocsparseL19nnz_compress_kernelILi1024ELi64ELi16E21rocsparse_complex_numIdEEEvi21rocsparse_index_base_PKT2_PKiPiS4_.uses_vcc, 1
	.set _ZN9rocsparseL19nnz_compress_kernelILi1024ELi64ELi16E21rocsparse_complex_numIdEEEvi21rocsparse_index_base_PKT2_PKiPiS4_.uses_flat_scratch, 0
	.set _ZN9rocsparseL19nnz_compress_kernelILi1024ELi64ELi16E21rocsparse_complex_numIdEEEvi21rocsparse_index_base_PKT2_PKiPiS4_.has_dyn_sized_stack, 0
	.set _ZN9rocsparseL19nnz_compress_kernelILi1024ELi64ELi16E21rocsparse_complex_numIdEEEvi21rocsparse_index_base_PKT2_PKiPiS4_.has_recursion, 0
	.set _ZN9rocsparseL19nnz_compress_kernelILi1024ELi64ELi16E21rocsparse_complex_numIdEEEvi21rocsparse_index_base_PKT2_PKiPiS4_.has_indirect_call, 0
	.section	.AMDGPU.csdata,"",@progbits
; Kernel info:
; codeLenInByte = 1500
; TotalNumSgprs: 24
; NumVgprs: 24
; ScratchSize: 0
; MemoryBound: 0
; FloatMode: 240
; IeeeMode: 1
; LDSByteSize: 0 bytes/workgroup (compile time only)
; SGPRBlocks: 2
; VGPRBlocks: 5
; NumSGPRsForWavesPerEU: 24
; NumVGPRsForWavesPerEU: 24
; Occupancy: 10
; WaveLimiterHint : 0
; COMPUTE_PGM_RSRC2:SCRATCH_EN: 0
; COMPUTE_PGM_RSRC2:USER_SGPR: 6
; COMPUTE_PGM_RSRC2:TRAP_HANDLER: 0
; COMPUTE_PGM_RSRC2:TGID_X_EN: 1
; COMPUTE_PGM_RSRC2:TGID_Y_EN: 0
; COMPUTE_PGM_RSRC2:TGID_Z_EN: 0
; COMPUTE_PGM_RSRC2:TIDIG_COMP_CNT: 0
	.section	.text._ZN9rocsparseL19nnz_compress_kernelILi1024ELi32ELi32E21rocsparse_complex_numIdEEEvi21rocsparse_index_base_PKT2_PKiPiS4_,"axG",@progbits,_ZN9rocsparseL19nnz_compress_kernelILi1024ELi32ELi32E21rocsparse_complex_numIdEEEvi21rocsparse_index_base_PKT2_PKiPiS4_,comdat
	.globl	_ZN9rocsparseL19nnz_compress_kernelILi1024ELi32ELi32E21rocsparse_complex_numIdEEEvi21rocsparse_index_base_PKT2_PKiPiS4_ ; -- Begin function _ZN9rocsparseL19nnz_compress_kernelILi1024ELi32ELi32E21rocsparse_complex_numIdEEEvi21rocsparse_index_base_PKT2_PKiPiS4_
	.p2align	8
	.type	_ZN9rocsparseL19nnz_compress_kernelILi1024ELi32ELi32E21rocsparse_complex_numIdEEEvi21rocsparse_index_base_PKT2_PKiPiS4_,@function
_ZN9rocsparseL19nnz_compress_kernelILi1024ELi32ELi32E21rocsparse_complex_numIdEEEvi21rocsparse_index_base_PKT2_PKiPiS4_: ; @_ZN9rocsparseL19nnz_compress_kernelILi1024ELi32ELi32E21rocsparse_complex_numIdEEEvi21rocsparse_index_base_PKT2_PKiPiS4_
; %bb.0:
	s_load_dwordx2 s[8:9], s[4:5], 0x0
	v_lshrrev_b32_e32 v1, 5, v0
	v_lshl_or_b32 v1, s6, 5, v1
	s_waitcnt lgkmcnt(0)
	v_cmp_gt_i32_e32 vcc, s8, v1
	s_and_saveexec_b64 s[0:1], vcc
	s_cbranch_execz .LBB22_22
; %bb.1:
	s_load_dwordx4 s[0:3], s[4:5], 0x10
	v_ashrrev_i32_e32 v2, 31, v1
	v_lshlrev_b64 v[4:5], 2, v[1:2]
	v_and_b32_e32 v0, 31, v0
	v_subrev_u32_e32 v0, s9, v0
	s_waitcnt lgkmcnt(0)
	v_mov_b32_e32 v2, s1
	v_add_co_u32_e32 v1, vcc, s0, v4
	v_addc_co_u32_e32 v2, vcc, v2, v5, vcc
	global_load_dwordx2 v[1:2], v[1:2], off
	v_mov_b32_e32 v14, 0
	s_waitcnt vmcnt(0)
	v_subrev_u32_e32 v13, s9, v2
	v_add_u32_e32 v6, v1, v0
	v_cmp_lt_i32_e32 vcc, v6, v13
	s_and_saveexec_b64 s[6:7], vcc
	s_cbranch_execz .LBB22_21
; %bb.2:
	s_load_dwordx2 s[0:1], s[4:5], 0x8
	s_load_dwordx2 s[8:9], s[4:5], 0x20
	v_ashrrev_i32_e32 v7, 31, v6
	v_lshlrev_b64 v[0:1], 4, v[6:7]
	s_mov_b32 s10, 0
	s_waitcnt lgkmcnt(0)
	v_mov_b32_e32 v2, s1
	v_add_co_u32_e32 v0, vcc, s0, v0
	v_addc_co_u32_e32 v1, vcc, v2, v1, vcc
	v_add_co_u32_e32 v7, vcc, 8, v0
	s_mov_b32 s12, 0
	v_addc_co_u32_e32 v8, vcc, 0, v1, vcc
	v_mov_b32_e32 v14, 0
	s_mov_b64 s[4:5], 0
	s_brev_b32 s11, 8
	v_mov_b32_e32 v15, 0x260
	s_mov_b32 s13, 0x38100000
	v_mov_b32_e32 v16, 0x100
	v_mov_b32_e32 v17, 0xffffff80
	s_branch .LBB22_5
.LBB22_3:                               ;   in Loop: Header=BB22_5 Depth=1
	s_or_b64 exec, exec, s[0:1]
.LBB22_4:                               ;   in Loop: Header=BB22_5 Depth=1
	s_or_b64 exec, exec, s[14:15]
	v_add_u32_e32 v6, 32, v6
	v_add_co_u32_e32 v7, vcc, 0x200, v7
	v_cmp_ge_i32_e64 s[0:1], v6, v13
	s_or_b64 s[4:5], s[0:1], s[4:5]
	v_addc_co_u32_e32 v8, vcc, 0, v8, vcc
	s_andn2_b64 exec, exec, s[4:5]
	s_cbranch_execz .LBB22_20
.LBB22_5:                               ; =>This Inner Loop Header: Depth=1
	global_load_dwordx4 v[0:3], v[7:8], off offset:-8
                                        ; implicit-def: $vgpr11_vgpr12
	s_waitcnt vmcnt(0)
	v_cmp_gt_f64_e32 vcc, 0, v[0:1]
	v_xor_b32_e32 v9, 0x80000000, v1
	v_xor_b32_e32 v10, 0x80000000, v3
	v_cndmask_b32_e32 v1, v1, v9, vcc
	v_cmp_gt_f64_e32 vcc, 0, v[2:3]
	v_mov_b32_e32 v9, v2
	v_cndmask_b32_e32 v10, v3, v10, vcc
	v_cmp_ngt_f64_e64 s[0:1], v[0:1], v[9:10]
	s_and_saveexec_b64 s[14:15], s[0:1]
	s_xor_b64 s[14:15], exec, s[14:15]
	s_cbranch_execnz .LBB22_8
; %bb.6:                                ;   in Loop: Header=BB22_5 Depth=1
	s_andn2_saveexec_b64 s[14:15], s[14:15]
	s_cbranch_execnz .LBB22_11
.LBB22_7:                               ;   in Loop: Header=BB22_5 Depth=1
	s_or_b64 exec, exec, s[14:15]
	v_cmp_lt_f64_e32 vcc, s[8:9], v[11:12]
	s_and_saveexec_b64 s[14:15], vcc
	s_cbranch_execz .LBB22_4
	s_branch .LBB22_12
.LBB22_8:                               ;   in Loop: Header=BB22_5 Depth=1
	v_cmp_neq_f64_e32 vcc, 0, v[2:3]
	v_mov_b32_e32 v11, 0
	v_mov_b32_e32 v12, 0
	s_and_saveexec_b64 s[16:17], vcc
	s_cbranch_execz .LBB22_10
; %bb.9:                                ;   in Loop: Header=BB22_5 Depth=1
	v_div_scale_f64 v[11:12], s[18:19], v[9:10], v[9:10], v[0:1]
	v_rcp_f64_e32 v[18:19], v[11:12]
	v_fma_f64 v[20:21], -v[11:12], v[18:19], 1.0
	v_fma_f64 v[18:19], v[18:19], v[20:21], v[18:19]
	v_div_scale_f64 v[20:21], vcc, v[0:1], v[9:10], v[0:1]
	v_fma_f64 v[22:23], -v[11:12], v[18:19], 1.0
	v_fma_f64 v[18:19], v[18:19], v[22:23], v[18:19]
	v_mul_f64 v[22:23], v[20:21], v[18:19]
	v_fma_f64 v[11:12], -v[11:12], v[22:23], v[20:21]
	v_div_fmas_f64 v[11:12], v[11:12], v[18:19], v[22:23]
	v_div_fixup_f64 v[11:12], v[11:12], v[9:10], v[0:1]
	v_fma_f64 v[11:12], v[11:12], v[11:12], 1.0
	v_cmp_gt_f64_e32 vcc, s[10:11], v[11:12]
	v_cndmask_b32_e32 v18, 0, v16, vcc
	v_ldexp_f64 v[11:12], v[11:12], v18
	v_rsq_f64_e32 v[18:19], v[11:12]
	v_mul_f64 v[20:21], v[11:12], v[18:19]
	v_mul_f64 v[18:19], v[18:19], 0.5
	v_fma_f64 v[22:23], -v[18:19], v[20:21], 0.5
	v_fma_f64 v[20:21], v[20:21], v[22:23], v[20:21]
	v_fma_f64 v[18:19], v[18:19], v[22:23], v[18:19]
	v_fma_f64 v[22:23], -v[20:21], v[20:21], v[11:12]
	v_fma_f64 v[20:21], v[22:23], v[18:19], v[20:21]
	v_fma_f64 v[22:23], -v[20:21], v[20:21], v[11:12]
	v_fma_f64 v[18:19], v[22:23], v[18:19], v[20:21]
	v_cndmask_b32_e32 v20, 0, v17, vcc
	v_cmp_class_f64_e32 vcc, v[11:12], v15
	v_ldexp_f64 v[18:19], v[18:19], v20
	v_cndmask_b32_e32 v12, v19, v12, vcc
	v_cndmask_b32_e32 v11, v18, v11, vcc
	v_mul_f64 v[11:12], v[9:10], v[11:12]
.LBB22_10:                              ;   in Loop: Header=BB22_5 Depth=1
	s_or_b64 exec, exec, s[16:17]
	s_andn2_saveexec_b64 s[14:15], s[14:15]
	s_cbranch_execz .LBB22_7
.LBB22_11:                              ;   in Loop: Header=BB22_5 Depth=1
	v_div_scale_f64 v[11:12], s[16:17], v[0:1], v[0:1], v[9:10]
	v_rcp_f64_e32 v[18:19], v[11:12]
	v_fma_f64 v[20:21], -v[11:12], v[18:19], 1.0
	v_fma_f64 v[18:19], v[18:19], v[20:21], v[18:19]
	v_div_scale_f64 v[20:21], vcc, v[9:10], v[0:1], v[9:10]
	v_fma_f64 v[22:23], -v[11:12], v[18:19], 1.0
	v_fma_f64 v[18:19], v[18:19], v[22:23], v[18:19]
	v_mul_f64 v[22:23], v[20:21], v[18:19]
	v_fma_f64 v[11:12], -v[11:12], v[22:23], v[20:21]
	v_div_fmas_f64 v[11:12], v[11:12], v[18:19], v[22:23]
	v_div_fixup_f64 v[11:12], v[11:12], v[0:1], v[9:10]
	v_fma_f64 v[11:12], v[11:12], v[11:12], 1.0
	v_cmp_gt_f64_e32 vcc, s[10:11], v[11:12]
	v_cndmask_b32_e32 v18, 0, v16, vcc
	v_ldexp_f64 v[11:12], v[11:12], v18
	v_rsq_f64_e32 v[18:19], v[11:12]
	v_mul_f64 v[20:21], v[11:12], v[18:19]
	v_mul_f64 v[18:19], v[18:19], 0.5
	v_fma_f64 v[22:23], -v[18:19], v[20:21], 0.5
	v_fma_f64 v[20:21], v[20:21], v[22:23], v[20:21]
	v_fma_f64 v[18:19], v[18:19], v[22:23], v[18:19]
	v_fma_f64 v[22:23], -v[20:21], v[20:21], v[11:12]
	v_fma_f64 v[20:21], v[22:23], v[18:19], v[20:21]
	v_fma_f64 v[22:23], -v[20:21], v[20:21], v[11:12]
	v_fma_f64 v[18:19], v[22:23], v[18:19], v[20:21]
	v_cndmask_b32_e32 v20, 0, v17, vcc
	v_cmp_class_f64_e32 vcc, v[11:12], v15
	v_ldexp_f64 v[18:19], v[18:19], v20
	v_cndmask_b32_e32 v12, v19, v12, vcc
	v_cndmask_b32_e32 v11, v18, v11, vcc
	v_mul_f64 v[11:12], v[0:1], v[11:12]
	s_or_b64 exec, exec, s[14:15]
	v_cmp_lt_f64_e32 vcc, s[8:9], v[11:12]
	s_and_saveexec_b64 s[14:15], vcc
	s_cbranch_execz .LBB22_4
.LBB22_12:                              ;   in Loop: Header=BB22_5 Depth=1
                                        ; implicit-def: $vgpr11_vgpr12
	s_and_saveexec_b64 s[16:17], s[0:1]
	s_xor_b64 s[0:1], exec, s[16:17]
	s_cbranch_execnz .LBB22_15
; %bb.13:                               ;   in Loop: Header=BB22_5 Depth=1
	s_andn2_saveexec_b64 s[0:1], s[0:1]
	s_cbranch_execnz .LBB22_18
.LBB22_14:                              ;   in Loop: Header=BB22_5 Depth=1
	s_or_b64 exec, exec, s[0:1]
	v_cmp_lt_f64_e32 vcc, s[12:13], v[11:12]
	s_and_saveexec_b64 s[0:1], vcc
	s_cbranch_execz .LBB22_3
	s_branch .LBB22_19
.LBB22_15:                              ;   in Loop: Header=BB22_5 Depth=1
	v_cmp_neq_f64_e32 vcc, 0, v[2:3]
	v_mov_b32_e32 v11, 0
	v_mov_b32_e32 v12, 0
	s_and_saveexec_b64 s[16:17], vcc
	s_cbranch_execz .LBB22_17
; %bb.16:                               ;   in Loop: Header=BB22_5 Depth=1
	v_div_scale_f64 v[2:3], s[18:19], v[9:10], v[9:10], v[0:1]
	v_rcp_f64_e32 v[11:12], v[2:3]
	v_fma_f64 v[18:19], -v[2:3], v[11:12], 1.0
	v_fma_f64 v[11:12], v[11:12], v[18:19], v[11:12]
	v_div_scale_f64 v[18:19], vcc, v[0:1], v[9:10], v[0:1]
	v_fma_f64 v[20:21], -v[2:3], v[11:12], 1.0
	v_fma_f64 v[11:12], v[11:12], v[20:21], v[11:12]
	v_mul_f64 v[20:21], v[18:19], v[11:12]
	v_fma_f64 v[2:3], -v[2:3], v[20:21], v[18:19]
	v_div_fmas_f64 v[2:3], v[2:3], v[11:12], v[20:21]
	v_div_fixup_f64 v[0:1], v[2:3], v[9:10], v[0:1]
	v_fma_f64 v[0:1], v[0:1], v[0:1], 1.0
	v_cmp_gt_f64_e32 vcc, s[10:11], v[0:1]
	v_cndmask_b32_e32 v2, 0, v16, vcc
	v_ldexp_f64 v[0:1], v[0:1], v2
	v_rsq_f64_e32 v[2:3], v[0:1]
	v_mul_f64 v[11:12], v[0:1], v[2:3]
	v_mul_f64 v[2:3], v[2:3], 0.5
	v_fma_f64 v[18:19], -v[2:3], v[11:12], 0.5
	v_fma_f64 v[11:12], v[11:12], v[18:19], v[11:12]
	v_fma_f64 v[2:3], v[2:3], v[18:19], v[2:3]
	v_fma_f64 v[18:19], -v[11:12], v[11:12], v[0:1]
	v_fma_f64 v[11:12], v[18:19], v[2:3], v[11:12]
	v_fma_f64 v[18:19], -v[11:12], v[11:12], v[0:1]
	v_fma_f64 v[2:3], v[18:19], v[2:3], v[11:12]
	v_cndmask_b32_e32 v11, 0, v17, vcc
	v_cmp_class_f64_e32 vcc, v[0:1], v15
	v_ldexp_f64 v[2:3], v[2:3], v11
	v_cndmask_b32_e32 v1, v3, v1, vcc
	v_cndmask_b32_e32 v0, v2, v0, vcc
	v_mul_f64 v[11:12], v[9:10], v[0:1]
.LBB22_17:                              ;   in Loop: Header=BB22_5 Depth=1
	s_or_b64 exec, exec, s[16:17]
                                        ; implicit-def: $vgpr0_vgpr1
                                        ; implicit-def: $vgpr9_vgpr10
	s_andn2_saveexec_b64 s[0:1], s[0:1]
	s_cbranch_execz .LBB22_14
.LBB22_18:                              ;   in Loop: Header=BB22_5 Depth=1
	v_div_scale_f64 v[2:3], s[16:17], v[0:1], v[0:1], v[9:10]
	v_rcp_f64_e32 v[11:12], v[2:3]
	v_fma_f64 v[18:19], -v[2:3], v[11:12], 1.0
	v_fma_f64 v[11:12], v[11:12], v[18:19], v[11:12]
	v_div_scale_f64 v[18:19], vcc, v[9:10], v[0:1], v[9:10]
	v_fma_f64 v[20:21], -v[2:3], v[11:12], 1.0
	v_fma_f64 v[11:12], v[11:12], v[20:21], v[11:12]
	v_mul_f64 v[20:21], v[18:19], v[11:12]
	v_fma_f64 v[2:3], -v[2:3], v[20:21], v[18:19]
	v_div_fmas_f64 v[2:3], v[2:3], v[11:12], v[20:21]
	v_div_fixup_f64 v[2:3], v[2:3], v[0:1], v[9:10]
	v_fma_f64 v[2:3], v[2:3], v[2:3], 1.0
	v_cmp_gt_f64_e32 vcc, s[10:11], v[2:3]
	v_cndmask_b32_e32 v9, 0, v16, vcc
	v_ldexp_f64 v[2:3], v[2:3], v9
	v_rsq_f64_e32 v[9:10], v[2:3]
	v_mul_f64 v[11:12], v[2:3], v[9:10]
	v_mul_f64 v[9:10], v[9:10], 0.5
	v_fma_f64 v[18:19], -v[9:10], v[11:12], 0.5
	v_fma_f64 v[11:12], v[11:12], v[18:19], v[11:12]
	v_fma_f64 v[9:10], v[9:10], v[18:19], v[9:10]
	v_fma_f64 v[18:19], -v[11:12], v[11:12], v[2:3]
	v_fma_f64 v[11:12], v[18:19], v[9:10], v[11:12]
	v_fma_f64 v[18:19], -v[11:12], v[11:12], v[2:3]
	v_fma_f64 v[9:10], v[18:19], v[9:10], v[11:12]
	v_cndmask_b32_e32 v11, 0, v17, vcc
	v_cmp_class_f64_e32 vcc, v[2:3], v15
	v_ldexp_f64 v[9:10], v[9:10], v11
	v_cndmask_b32_e32 v3, v10, v3, vcc
	v_cndmask_b32_e32 v2, v9, v2, vcc
	v_mul_f64 v[11:12], v[0:1], v[2:3]
	s_or_b64 exec, exec, s[0:1]
	v_cmp_lt_f64_e32 vcc, s[12:13], v[11:12]
	s_and_saveexec_b64 s[0:1], vcc
	s_cbranch_execz .LBB22_3
.LBB22_19:                              ;   in Loop: Header=BB22_5 Depth=1
	v_add_u32_e32 v14, 1, v14
	s_branch .LBB22_3
.LBB22_20:
	s_or_b64 exec, exec, s[4:5]
.LBB22_21:
	s_or_b64 exec, exec, s[6:7]
	v_mov_b32_dpp v0, v14 row_shr:1 row_mask:0xf bank_mask:0xf
	v_add_u32_e32 v0, v0, v14
	v_mov_b32_e32 v2, 0x7c
	s_nop 0
	v_mov_b32_dpp v1, v0 row_shr:2 row_mask:0xf bank_mask:0xf
	v_add_u32_e32 v0, v0, v1
	s_nop 1
	v_mov_b32_dpp v1, v0 row_shr:4 row_mask:0xf bank_mask:0xe
	v_add_u32_e32 v0, v0, v1
	;; [unrolled: 3-line block ×3, first 2 shown]
	s_nop 1
	v_mov_b32_dpp v1, v0 row_bcast:15 row_mask:0xa bank_mask:0xf
	v_add_u32_e32 v0, v0, v1
	v_mbcnt_lo_u32_b32 v1, -1, 0
	v_mbcnt_hi_u32_b32 v1, -1, v1
	v_lshl_or_b32 v1, v1, 2, v2
	ds_bpermute_b32 v2, v1, v0
	v_mov_b32_e32 v1, s3
	v_add_co_u32_e32 v0, vcc, s2, v4
	v_addc_co_u32_e32 v1, vcc, v1, v5, vcc
	s_waitcnt lgkmcnt(0)
	global_store_dword v[0:1], v2, off
.LBB22_22:
	s_endpgm
	.section	.rodata,"a",@progbits
	.p2align	6, 0x0
	.amdhsa_kernel _ZN9rocsparseL19nnz_compress_kernelILi1024ELi32ELi32E21rocsparse_complex_numIdEEEvi21rocsparse_index_base_PKT2_PKiPiS4_
		.amdhsa_group_segment_fixed_size 0
		.amdhsa_private_segment_fixed_size 0
		.amdhsa_kernarg_size 48
		.amdhsa_user_sgpr_count 6
		.amdhsa_user_sgpr_private_segment_buffer 1
		.amdhsa_user_sgpr_dispatch_ptr 0
		.amdhsa_user_sgpr_queue_ptr 0
		.amdhsa_user_sgpr_kernarg_segment_ptr 1
		.amdhsa_user_sgpr_dispatch_id 0
		.amdhsa_user_sgpr_flat_scratch_init 0
		.amdhsa_user_sgpr_private_segment_size 0
		.amdhsa_uses_dynamic_stack 0
		.amdhsa_system_sgpr_private_segment_wavefront_offset 0
		.amdhsa_system_sgpr_workgroup_id_x 1
		.amdhsa_system_sgpr_workgroup_id_y 0
		.amdhsa_system_sgpr_workgroup_id_z 0
		.amdhsa_system_sgpr_workgroup_info 0
		.amdhsa_system_vgpr_workitem_id 0
		.amdhsa_next_free_vgpr 24
		.amdhsa_next_free_sgpr 20
		.amdhsa_reserve_vcc 1
		.amdhsa_reserve_flat_scratch 0
		.amdhsa_float_round_mode_32 0
		.amdhsa_float_round_mode_16_64 0
		.amdhsa_float_denorm_mode_32 3
		.amdhsa_float_denorm_mode_16_64 3
		.amdhsa_dx10_clamp 1
		.amdhsa_ieee_mode 1
		.amdhsa_fp16_overflow 0
		.amdhsa_exception_fp_ieee_invalid_op 0
		.amdhsa_exception_fp_denorm_src 0
		.amdhsa_exception_fp_ieee_div_zero 0
		.amdhsa_exception_fp_ieee_overflow 0
		.amdhsa_exception_fp_ieee_underflow 0
		.amdhsa_exception_fp_ieee_inexact 0
		.amdhsa_exception_int_div_zero 0
	.end_amdhsa_kernel
	.section	.text._ZN9rocsparseL19nnz_compress_kernelILi1024ELi32ELi32E21rocsparse_complex_numIdEEEvi21rocsparse_index_base_PKT2_PKiPiS4_,"axG",@progbits,_ZN9rocsparseL19nnz_compress_kernelILi1024ELi32ELi32E21rocsparse_complex_numIdEEEvi21rocsparse_index_base_PKT2_PKiPiS4_,comdat
.Lfunc_end22:
	.size	_ZN9rocsparseL19nnz_compress_kernelILi1024ELi32ELi32E21rocsparse_complex_numIdEEEvi21rocsparse_index_base_PKT2_PKiPiS4_, .Lfunc_end22-_ZN9rocsparseL19nnz_compress_kernelILi1024ELi32ELi32E21rocsparse_complex_numIdEEEvi21rocsparse_index_base_PKT2_PKiPiS4_
                                        ; -- End function
	.set _ZN9rocsparseL19nnz_compress_kernelILi1024ELi32ELi32E21rocsparse_complex_numIdEEEvi21rocsparse_index_base_PKT2_PKiPiS4_.num_vgpr, 24
	.set _ZN9rocsparseL19nnz_compress_kernelILi1024ELi32ELi32E21rocsparse_complex_numIdEEEvi21rocsparse_index_base_PKT2_PKiPiS4_.num_agpr, 0
	.set _ZN9rocsparseL19nnz_compress_kernelILi1024ELi32ELi32E21rocsparse_complex_numIdEEEvi21rocsparse_index_base_PKT2_PKiPiS4_.numbered_sgpr, 20
	.set _ZN9rocsparseL19nnz_compress_kernelILi1024ELi32ELi32E21rocsparse_complex_numIdEEEvi21rocsparse_index_base_PKT2_PKiPiS4_.num_named_barrier, 0
	.set _ZN9rocsparseL19nnz_compress_kernelILi1024ELi32ELi32E21rocsparse_complex_numIdEEEvi21rocsparse_index_base_PKT2_PKiPiS4_.private_seg_size, 0
	.set _ZN9rocsparseL19nnz_compress_kernelILi1024ELi32ELi32E21rocsparse_complex_numIdEEEvi21rocsparse_index_base_PKT2_PKiPiS4_.uses_vcc, 1
	.set _ZN9rocsparseL19nnz_compress_kernelILi1024ELi32ELi32E21rocsparse_complex_numIdEEEvi21rocsparse_index_base_PKT2_PKiPiS4_.uses_flat_scratch, 0
	.set _ZN9rocsparseL19nnz_compress_kernelILi1024ELi32ELi32E21rocsparse_complex_numIdEEEvi21rocsparse_index_base_PKT2_PKiPiS4_.has_dyn_sized_stack, 0
	.set _ZN9rocsparseL19nnz_compress_kernelILi1024ELi32ELi32E21rocsparse_complex_numIdEEEvi21rocsparse_index_base_PKT2_PKiPiS4_.has_recursion, 0
	.set _ZN9rocsparseL19nnz_compress_kernelILi1024ELi32ELi32E21rocsparse_complex_numIdEEEvi21rocsparse_index_base_PKT2_PKiPiS4_.has_indirect_call, 0
	.section	.AMDGPU.csdata,"",@progbits
; Kernel info:
; codeLenInByte = 1524
; TotalNumSgprs: 24
; NumVgprs: 24
; ScratchSize: 0
; MemoryBound: 0
; FloatMode: 240
; IeeeMode: 1
; LDSByteSize: 0 bytes/workgroup (compile time only)
; SGPRBlocks: 2
; VGPRBlocks: 5
; NumSGPRsForWavesPerEU: 24
; NumVGPRsForWavesPerEU: 24
; Occupancy: 10
; WaveLimiterHint : 0
; COMPUTE_PGM_RSRC2:SCRATCH_EN: 0
; COMPUTE_PGM_RSRC2:USER_SGPR: 6
; COMPUTE_PGM_RSRC2:TRAP_HANDLER: 0
; COMPUTE_PGM_RSRC2:TGID_X_EN: 1
; COMPUTE_PGM_RSRC2:TGID_Y_EN: 0
; COMPUTE_PGM_RSRC2:TGID_Z_EN: 0
; COMPUTE_PGM_RSRC2:TIDIG_COMP_CNT: 0
	.section	.text._ZN9rocsparseL19nnz_compress_kernelILi1024ELi16ELi64E21rocsparse_complex_numIdEEEvi21rocsparse_index_base_PKT2_PKiPiS4_,"axG",@progbits,_ZN9rocsparseL19nnz_compress_kernelILi1024ELi16ELi64E21rocsparse_complex_numIdEEEvi21rocsparse_index_base_PKT2_PKiPiS4_,comdat
	.globl	_ZN9rocsparseL19nnz_compress_kernelILi1024ELi16ELi64E21rocsparse_complex_numIdEEEvi21rocsparse_index_base_PKT2_PKiPiS4_ ; -- Begin function _ZN9rocsparseL19nnz_compress_kernelILi1024ELi16ELi64E21rocsparse_complex_numIdEEEvi21rocsparse_index_base_PKT2_PKiPiS4_
	.p2align	8
	.type	_ZN9rocsparseL19nnz_compress_kernelILi1024ELi16ELi64E21rocsparse_complex_numIdEEEvi21rocsparse_index_base_PKT2_PKiPiS4_,@function
_ZN9rocsparseL19nnz_compress_kernelILi1024ELi16ELi64E21rocsparse_complex_numIdEEEvi21rocsparse_index_base_PKT2_PKiPiS4_: ; @_ZN9rocsparseL19nnz_compress_kernelILi1024ELi16ELi64E21rocsparse_complex_numIdEEEvi21rocsparse_index_base_PKT2_PKiPiS4_
; %bb.0:
	s_load_dwordx2 s[8:9], s[4:5], 0x0
	v_lshrrev_b32_e32 v1, 6, v0
	v_lshl_or_b32 v1, s6, 4, v1
	s_waitcnt lgkmcnt(0)
	v_cmp_gt_i32_e32 vcc, s8, v1
	s_and_saveexec_b64 s[0:1], vcc
	s_cbranch_execz .LBB23_22
; %bb.1:
	s_load_dwordx4 s[0:3], s[4:5], 0x10
	v_ashrrev_i32_e32 v2, 31, v1
	v_lshlrev_b64 v[4:5], 2, v[1:2]
	v_and_b32_e32 v0, 63, v0
	v_subrev_u32_e32 v0, s9, v0
	s_waitcnt lgkmcnt(0)
	v_mov_b32_e32 v2, s1
	v_add_co_u32_e32 v1, vcc, s0, v4
	v_addc_co_u32_e32 v2, vcc, v2, v5, vcc
	global_load_dwordx2 v[1:2], v[1:2], off
	v_mov_b32_e32 v14, 0
	s_waitcnt vmcnt(0)
	v_subrev_u32_e32 v13, s9, v2
	v_add_u32_e32 v6, v1, v0
	v_cmp_lt_i32_e32 vcc, v6, v13
	s_and_saveexec_b64 s[6:7], vcc
	s_cbranch_execz .LBB23_21
; %bb.2:
	s_load_dwordx2 s[0:1], s[4:5], 0x8
	s_load_dwordx2 s[8:9], s[4:5], 0x20
	v_ashrrev_i32_e32 v7, 31, v6
	v_lshlrev_b64 v[0:1], 4, v[6:7]
	s_mov_b32 s10, 0
	s_waitcnt lgkmcnt(0)
	v_mov_b32_e32 v2, s1
	v_add_co_u32_e32 v0, vcc, s0, v0
	v_addc_co_u32_e32 v1, vcc, v2, v1, vcc
	v_add_co_u32_e32 v7, vcc, 8, v0
	s_mov_b32 s12, 0
	v_addc_co_u32_e32 v8, vcc, 0, v1, vcc
	v_mov_b32_e32 v14, 0
	s_mov_b64 s[4:5], 0
	s_brev_b32 s11, 8
	v_mov_b32_e32 v15, 0x260
	s_mov_b32 s13, 0x38100000
	v_mov_b32_e32 v16, 0x100
	v_mov_b32_e32 v17, 0xffffff80
	s_branch .LBB23_5
.LBB23_3:                               ;   in Loop: Header=BB23_5 Depth=1
	s_or_b64 exec, exec, s[0:1]
.LBB23_4:                               ;   in Loop: Header=BB23_5 Depth=1
	s_or_b64 exec, exec, s[14:15]
	v_add_u32_e32 v6, 64, v6
	v_add_co_u32_e32 v7, vcc, 0x400, v7
	v_cmp_ge_i32_e64 s[0:1], v6, v13
	s_or_b64 s[4:5], s[0:1], s[4:5]
	v_addc_co_u32_e32 v8, vcc, 0, v8, vcc
	s_andn2_b64 exec, exec, s[4:5]
	s_cbranch_execz .LBB23_20
.LBB23_5:                               ; =>This Inner Loop Header: Depth=1
	global_load_dwordx4 v[0:3], v[7:8], off offset:-8
                                        ; implicit-def: $vgpr11_vgpr12
	s_waitcnt vmcnt(0)
	v_cmp_gt_f64_e32 vcc, 0, v[0:1]
	v_xor_b32_e32 v9, 0x80000000, v1
	v_xor_b32_e32 v10, 0x80000000, v3
	v_cndmask_b32_e32 v1, v1, v9, vcc
	v_cmp_gt_f64_e32 vcc, 0, v[2:3]
	v_mov_b32_e32 v9, v2
	v_cndmask_b32_e32 v10, v3, v10, vcc
	v_cmp_ngt_f64_e64 s[0:1], v[0:1], v[9:10]
	s_and_saveexec_b64 s[14:15], s[0:1]
	s_xor_b64 s[14:15], exec, s[14:15]
	s_cbranch_execnz .LBB23_8
; %bb.6:                                ;   in Loop: Header=BB23_5 Depth=1
	s_andn2_saveexec_b64 s[14:15], s[14:15]
	s_cbranch_execnz .LBB23_11
.LBB23_7:                               ;   in Loop: Header=BB23_5 Depth=1
	s_or_b64 exec, exec, s[14:15]
	v_cmp_lt_f64_e32 vcc, s[8:9], v[11:12]
	s_and_saveexec_b64 s[14:15], vcc
	s_cbranch_execz .LBB23_4
	s_branch .LBB23_12
.LBB23_8:                               ;   in Loop: Header=BB23_5 Depth=1
	v_cmp_neq_f64_e32 vcc, 0, v[2:3]
	v_mov_b32_e32 v11, 0
	v_mov_b32_e32 v12, 0
	s_and_saveexec_b64 s[16:17], vcc
	s_cbranch_execz .LBB23_10
; %bb.9:                                ;   in Loop: Header=BB23_5 Depth=1
	v_div_scale_f64 v[11:12], s[18:19], v[9:10], v[9:10], v[0:1]
	v_rcp_f64_e32 v[18:19], v[11:12]
	v_fma_f64 v[20:21], -v[11:12], v[18:19], 1.0
	v_fma_f64 v[18:19], v[18:19], v[20:21], v[18:19]
	v_div_scale_f64 v[20:21], vcc, v[0:1], v[9:10], v[0:1]
	v_fma_f64 v[22:23], -v[11:12], v[18:19], 1.0
	v_fma_f64 v[18:19], v[18:19], v[22:23], v[18:19]
	v_mul_f64 v[22:23], v[20:21], v[18:19]
	v_fma_f64 v[11:12], -v[11:12], v[22:23], v[20:21]
	v_div_fmas_f64 v[11:12], v[11:12], v[18:19], v[22:23]
	v_div_fixup_f64 v[11:12], v[11:12], v[9:10], v[0:1]
	v_fma_f64 v[11:12], v[11:12], v[11:12], 1.0
	v_cmp_gt_f64_e32 vcc, s[10:11], v[11:12]
	v_cndmask_b32_e32 v18, 0, v16, vcc
	v_ldexp_f64 v[11:12], v[11:12], v18
	v_rsq_f64_e32 v[18:19], v[11:12]
	v_mul_f64 v[20:21], v[11:12], v[18:19]
	v_mul_f64 v[18:19], v[18:19], 0.5
	v_fma_f64 v[22:23], -v[18:19], v[20:21], 0.5
	v_fma_f64 v[20:21], v[20:21], v[22:23], v[20:21]
	v_fma_f64 v[18:19], v[18:19], v[22:23], v[18:19]
	v_fma_f64 v[22:23], -v[20:21], v[20:21], v[11:12]
	v_fma_f64 v[20:21], v[22:23], v[18:19], v[20:21]
	v_fma_f64 v[22:23], -v[20:21], v[20:21], v[11:12]
	v_fma_f64 v[18:19], v[22:23], v[18:19], v[20:21]
	v_cndmask_b32_e32 v20, 0, v17, vcc
	v_cmp_class_f64_e32 vcc, v[11:12], v15
	v_ldexp_f64 v[18:19], v[18:19], v20
	v_cndmask_b32_e32 v12, v19, v12, vcc
	v_cndmask_b32_e32 v11, v18, v11, vcc
	v_mul_f64 v[11:12], v[9:10], v[11:12]
.LBB23_10:                              ;   in Loop: Header=BB23_5 Depth=1
	s_or_b64 exec, exec, s[16:17]
	s_andn2_saveexec_b64 s[14:15], s[14:15]
	s_cbranch_execz .LBB23_7
.LBB23_11:                              ;   in Loop: Header=BB23_5 Depth=1
	v_div_scale_f64 v[11:12], s[16:17], v[0:1], v[0:1], v[9:10]
	v_rcp_f64_e32 v[18:19], v[11:12]
	v_fma_f64 v[20:21], -v[11:12], v[18:19], 1.0
	v_fma_f64 v[18:19], v[18:19], v[20:21], v[18:19]
	v_div_scale_f64 v[20:21], vcc, v[9:10], v[0:1], v[9:10]
	v_fma_f64 v[22:23], -v[11:12], v[18:19], 1.0
	v_fma_f64 v[18:19], v[18:19], v[22:23], v[18:19]
	v_mul_f64 v[22:23], v[20:21], v[18:19]
	v_fma_f64 v[11:12], -v[11:12], v[22:23], v[20:21]
	v_div_fmas_f64 v[11:12], v[11:12], v[18:19], v[22:23]
	v_div_fixup_f64 v[11:12], v[11:12], v[0:1], v[9:10]
	v_fma_f64 v[11:12], v[11:12], v[11:12], 1.0
	v_cmp_gt_f64_e32 vcc, s[10:11], v[11:12]
	v_cndmask_b32_e32 v18, 0, v16, vcc
	v_ldexp_f64 v[11:12], v[11:12], v18
	v_rsq_f64_e32 v[18:19], v[11:12]
	v_mul_f64 v[20:21], v[11:12], v[18:19]
	v_mul_f64 v[18:19], v[18:19], 0.5
	v_fma_f64 v[22:23], -v[18:19], v[20:21], 0.5
	v_fma_f64 v[20:21], v[20:21], v[22:23], v[20:21]
	v_fma_f64 v[18:19], v[18:19], v[22:23], v[18:19]
	v_fma_f64 v[22:23], -v[20:21], v[20:21], v[11:12]
	v_fma_f64 v[20:21], v[22:23], v[18:19], v[20:21]
	v_fma_f64 v[22:23], -v[20:21], v[20:21], v[11:12]
	v_fma_f64 v[18:19], v[22:23], v[18:19], v[20:21]
	v_cndmask_b32_e32 v20, 0, v17, vcc
	v_cmp_class_f64_e32 vcc, v[11:12], v15
	v_ldexp_f64 v[18:19], v[18:19], v20
	v_cndmask_b32_e32 v12, v19, v12, vcc
	v_cndmask_b32_e32 v11, v18, v11, vcc
	v_mul_f64 v[11:12], v[0:1], v[11:12]
	s_or_b64 exec, exec, s[14:15]
	v_cmp_lt_f64_e32 vcc, s[8:9], v[11:12]
	s_and_saveexec_b64 s[14:15], vcc
	s_cbranch_execz .LBB23_4
.LBB23_12:                              ;   in Loop: Header=BB23_5 Depth=1
                                        ; implicit-def: $vgpr11_vgpr12
	s_and_saveexec_b64 s[16:17], s[0:1]
	s_xor_b64 s[0:1], exec, s[16:17]
	s_cbranch_execnz .LBB23_15
; %bb.13:                               ;   in Loop: Header=BB23_5 Depth=1
	s_andn2_saveexec_b64 s[0:1], s[0:1]
	s_cbranch_execnz .LBB23_18
.LBB23_14:                              ;   in Loop: Header=BB23_5 Depth=1
	s_or_b64 exec, exec, s[0:1]
	v_cmp_lt_f64_e32 vcc, s[12:13], v[11:12]
	s_and_saveexec_b64 s[0:1], vcc
	s_cbranch_execz .LBB23_3
	s_branch .LBB23_19
.LBB23_15:                              ;   in Loop: Header=BB23_5 Depth=1
	v_cmp_neq_f64_e32 vcc, 0, v[2:3]
	v_mov_b32_e32 v11, 0
	v_mov_b32_e32 v12, 0
	s_and_saveexec_b64 s[16:17], vcc
	s_cbranch_execz .LBB23_17
; %bb.16:                               ;   in Loop: Header=BB23_5 Depth=1
	v_div_scale_f64 v[2:3], s[18:19], v[9:10], v[9:10], v[0:1]
	v_rcp_f64_e32 v[11:12], v[2:3]
	v_fma_f64 v[18:19], -v[2:3], v[11:12], 1.0
	v_fma_f64 v[11:12], v[11:12], v[18:19], v[11:12]
	v_div_scale_f64 v[18:19], vcc, v[0:1], v[9:10], v[0:1]
	v_fma_f64 v[20:21], -v[2:3], v[11:12], 1.0
	v_fma_f64 v[11:12], v[11:12], v[20:21], v[11:12]
	v_mul_f64 v[20:21], v[18:19], v[11:12]
	v_fma_f64 v[2:3], -v[2:3], v[20:21], v[18:19]
	v_div_fmas_f64 v[2:3], v[2:3], v[11:12], v[20:21]
	v_div_fixup_f64 v[0:1], v[2:3], v[9:10], v[0:1]
	v_fma_f64 v[0:1], v[0:1], v[0:1], 1.0
	v_cmp_gt_f64_e32 vcc, s[10:11], v[0:1]
	v_cndmask_b32_e32 v2, 0, v16, vcc
	v_ldexp_f64 v[0:1], v[0:1], v2
	v_rsq_f64_e32 v[2:3], v[0:1]
	v_mul_f64 v[11:12], v[0:1], v[2:3]
	v_mul_f64 v[2:3], v[2:3], 0.5
	v_fma_f64 v[18:19], -v[2:3], v[11:12], 0.5
	v_fma_f64 v[11:12], v[11:12], v[18:19], v[11:12]
	v_fma_f64 v[2:3], v[2:3], v[18:19], v[2:3]
	v_fma_f64 v[18:19], -v[11:12], v[11:12], v[0:1]
	v_fma_f64 v[11:12], v[18:19], v[2:3], v[11:12]
	v_fma_f64 v[18:19], -v[11:12], v[11:12], v[0:1]
	v_fma_f64 v[2:3], v[18:19], v[2:3], v[11:12]
	v_cndmask_b32_e32 v11, 0, v17, vcc
	v_cmp_class_f64_e32 vcc, v[0:1], v15
	v_ldexp_f64 v[2:3], v[2:3], v11
	v_cndmask_b32_e32 v1, v3, v1, vcc
	v_cndmask_b32_e32 v0, v2, v0, vcc
	v_mul_f64 v[11:12], v[9:10], v[0:1]
.LBB23_17:                              ;   in Loop: Header=BB23_5 Depth=1
	s_or_b64 exec, exec, s[16:17]
                                        ; implicit-def: $vgpr0_vgpr1
                                        ; implicit-def: $vgpr9_vgpr10
	s_andn2_saveexec_b64 s[0:1], s[0:1]
	s_cbranch_execz .LBB23_14
.LBB23_18:                              ;   in Loop: Header=BB23_5 Depth=1
	v_div_scale_f64 v[2:3], s[16:17], v[0:1], v[0:1], v[9:10]
	v_rcp_f64_e32 v[11:12], v[2:3]
	v_fma_f64 v[18:19], -v[2:3], v[11:12], 1.0
	v_fma_f64 v[11:12], v[11:12], v[18:19], v[11:12]
	v_div_scale_f64 v[18:19], vcc, v[9:10], v[0:1], v[9:10]
	v_fma_f64 v[20:21], -v[2:3], v[11:12], 1.0
	v_fma_f64 v[11:12], v[11:12], v[20:21], v[11:12]
	v_mul_f64 v[20:21], v[18:19], v[11:12]
	v_fma_f64 v[2:3], -v[2:3], v[20:21], v[18:19]
	v_div_fmas_f64 v[2:3], v[2:3], v[11:12], v[20:21]
	v_div_fixup_f64 v[2:3], v[2:3], v[0:1], v[9:10]
	v_fma_f64 v[2:3], v[2:3], v[2:3], 1.0
	v_cmp_gt_f64_e32 vcc, s[10:11], v[2:3]
	v_cndmask_b32_e32 v9, 0, v16, vcc
	v_ldexp_f64 v[2:3], v[2:3], v9
	v_rsq_f64_e32 v[9:10], v[2:3]
	v_mul_f64 v[11:12], v[2:3], v[9:10]
	v_mul_f64 v[9:10], v[9:10], 0.5
	v_fma_f64 v[18:19], -v[9:10], v[11:12], 0.5
	v_fma_f64 v[11:12], v[11:12], v[18:19], v[11:12]
	v_fma_f64 v[9:10], v[9:10], v[18:19], v[9:10]
	v_fma_f64 v[18:19], -v[11:12], v[11:12], v[2:3]
	v_fma_f64 v[11:12], v[18:19], v[9:10], v[11:12]
	v_fma_f64 v[18:19], -v[11:12], v[11:12], v[2:3]
	v_fma_f64 v[9:10], v[18:19], v[9:10], v[11:12]
	v_cndmask_b32_e32 v11, 0, v17, vcc
	v_cmp_class_f64_e32 vcc, v[2:3], v15
	v_ldexp_f64 v[9:10], v[9:10], v11
	v_cndmask_b32_e32 v3, v10, v3, vcc
	v_cndmask_b32_e32 v2, v9, v2, vcc
	v_mul_f64 v[11:12], v[0:1], v[2:3]
	s_or_b64 exec, exec, s[0:1]
	v_cmp_lt_f64_e32 vcc, s[12:13], v[11:12]
	s_and_saveexec_b64 s[0:1], vcc
	s_cbranch_execz .LBB23_3
.LBB23_19:                              ;   in Loop: Header=BB23_5 Depth=1
	v_add_u32_e32 v14, 1, v14
	s_branch .LBB23_3
.LBB23_20:
	s_or_b64 exec, exec, s[4:5]
.LBB23_21:
	s_or_b64 exec, exec, s[6:7]
	v_mov_b32_dpp v0, v14 row_shr:1 row_mask:0xf bank_mask:0xf
	v_add_u32_e32 v0, v0, v14
	v_bfrev_b32_e32 v2, 0.5
	s_nop 0
	v_mov_b32_dpp v1, v0 row_shr:2 row_mask:0xf bank_mask:0xf
	v_add_u32_e32 v0, v0, v1
	s_nop 1
	v_mov_b32_dpp v1, v0 row_shr:4 row_mask:0xf bank_mask:0xe
	v_add_u32_e32 v0, v0, v1
	;; [unrolled: 3-line block ×3, first 2 shown]
	s_nop 1
	v_mov_b32_dpp v1, v0 row_bcast:15 row_mask:0xa bank_mask:0xf
	v_add_u32_e32 v0, v0, v1
	s_nop 1
	v_mov_b32_dpp v1, v0 row_bcast:31 row_mask:0xc bank_mask:0xf
	v_add_u32_e32 v0, v0, v1
	v_mbcnt_lo_u32_b32 v1, -1, 0
	v_mbcnt_hi_u32_b32 v1, -1, v1
	v_lshl_or_b32 v1, v1, 2, v2
	ds_bpermute_b32 v2, v1, v0
	v_mov_b32_e32 v1, s3
	v_add_co_u32_e32 v0, vcc, s2, v4
	v_addc_co_u32_e32 v1, vcc, v1, v5, vcc
	s_waitcnt lgkmcnt(0)
	global_store_dword v[0:1], v2, off
.LBB23_22:
	s_endpgm
	.section	.rodata,"a",@progbits
	.p2align	6, 0x0
	.amdhsa_kernel _ZN9rocsparseL19nnz_compress_kernelILi1024ELi16ELi64E21rocsparse_complex_numIdEEEvi21rocsparse_index_base_PKT2_PKiPiS4_
		.amdhsa_group_segment_fixed_size 0
		.amdhsa_private_segment_fixed_size 0
		.amdhsa_kernarg_size 48
		.amdhsa_user_sgpr_count 6
		.amdhsa_user_sgpr_private_segment_buffer 1
		.amdhsa_user_sgpr_dispatch_ptr 0
		.amdhsa_user_sgpr_queue_ptr 0
		.amdhsa_user_sgpr_kernarg_segment_ptr 1
		.amdhsa_user_sgpr_dispatch_id 0
		.amdhsa_user_sgpr_flat_scratch_init 0
		.amdhsa_user_sgpr_private_segment_size 0
		.amdhsa_uses_dynamic_stack 0
		.amdhsa_system_sgpr_private_segment_wavefront_offset 0
		.amdhsa_system_sgpr_workgroup_id_x 1
		.amdhsa_system_sgpr_workgroup_id_y 0
		.amdhsa_system_sgpr_workgroup_id_z 0
		.amdhsa_system_sgpr_workgroup_info 0
		.amdhsa_system_vgpr_workitem_id 0
		.amdhsa_next_free_vgpr 24
		.amdhsa_next_free_sgpr 20
		.amdhsa_reserve_vcc 1
		.amdhsa_reserve_flat_scratch 0
		.amdhsa_float_round_mode_32 0
		.amdhsa_float_round_mode_16_64 0
		.amdhsa_float_denorm_mode_32 3
		.amdhsa_float_denorm_mode_16_64 3
		.amdhsa_dx10_clamp 1
		.amdhsa_ieee_mode 1
		.amdhsa_fp16_overflow 0
		.amdhsa_exception_fp_ieee_invalid_op 0
		.amdhsa_exception_fp_denorm_src 0
		.amdhsa_exception_fp_ieee_div_zero 0
		.amdhsa_exception_fp_ieee_overflow 0
		.amdhsa_exception_fp_ieee_underflow 0
		.amdhsa_exception_fp_ieee_inexact 0
		.amdhsa_exception_int_div_zero 0
	.end_amdhsa_kernel
	.section	.text._ZN9rocsparseL19nnz_compress_kernelILi1024ELi16ELi64E21rocsparse_complex_numIdEEEvi21rocsparse_index_base_PKT2_PKiPiS4_,"axG",@progbits,_ZN9rocsparseL19nnz_compress_kernelILi1024ELi16ELi64E21rocsparse_complex_numIdEEEvi21rocsparse_index_base_PKT2_PKiPiS4_,comdat
.Lfunc_end23:
	.size	_ZN9rocsparseL19nnz_compress_kernelILi1024ELi16ELi64E21rocsparse_complex_numIdEEEvi21rocsparse_index_base_PKT2_PKiPiS4_, .Lfunc_end23-_ZN9rocsparseL19nnz_compress_kernelILi1024ELi16ELi64E21rocsparse_complex_numIdEEEvi21rocsparse_index_base_PKT2_PKiPiS4_
                                        ; -- End function
	.set _ZN9rocsparseL19nnz_compress_kernelILi1024ELi16ELi64E21rocsparse_complex_numIdEEEvi21rocsparse_index_base_PKT2_PKiPiS4_.num_vgpr, 24
	.set _ZN9rocsparseL19nnz_compress_kernelILi1024ELi16ELi64E21rocsparse_complex_numIdEEEvi21rocsparse_index_base_PKT2_PKiPiS4_.num_agpr, 0
	.set _ZN9rocsparseL19nnz_compress_kernelILi1024ELi16ELi64E21rocsparse_complex_numIdEEEvi21rocsparse_index_base_PKT2_PKiPiS4_.numbered_sgpr, 20
	.set _ZN9rocsparseL19nnz_compress_kernelILi1024ELi16ELi64E21rocsparse_complex_numIdEEEvi21rocsparse_index_base_PKT2_PKiPiS4_.num_named_barrier, 0
	.set _ZN9rocsparseL19nnz_compress_kernelILi1024ELi16ELi64E21rocsparse_complex_numIdEEEvi21rocsparse_index_base_PKT2_PKiPiS4_.private_seg_size, 0
	.set _ZN9rocsparseL19nnz_compress_kernelILi1024ELi16ELi64E21rocsparse_complex_numIdEEEvi21rocsparse_index_base_PKT2_PKiPiS4_.uses_vcc, 1
	.set _ZN9rocsparseL19nnz_compress_kernelILi1024ELi16ELi64E21rocsparse_complex_numIdEEEvi21rocsparse_index_base_PKT2_PKiPiS4_.uses_flat_scratch, 0
	.set _ZN9rocsparseL19nnz_compress_kernelILi1024ELi16ELi64E21rocsparse_complex_numIdEEEvi21rocsparse_index_base_PKT2_PKiPiS4_.has_dyn_sized_stack, 0
	.set _ZN9rocsparseL19nnz_compress_kernelILi1024ELi16ELi64E21rocsparse_complex_numIdEEEvi21rocsparse_index_base_PKT2_PKiPiS4_.has_recursion, 0
	.set _ZN9rocsparseL19nnz_compress_kernelILi1024ELi16ELi64E21rocsparse_complex_numIdEEEvi21rocsparse_index_base_PKT2_PKiPiS4_.has_indirect_call, 0
	.section	.AMDGPU.csdata,"",@progbits
; Kernel info:
; codeLenInByte = 1536
; TotalNumSgprs: 24
; NumVgprs: 24
; ScratchSize: 0
; MemoryBound: 0
; FloatMode: 240
; IeeeMode: 1
; LDSByteSize: 0 bytes/workgroup (compile time only)
; SGPRBlocks: 2
; VGPRBlocks: 5
; NumSGPRsForWavesPerEU: 24
; NumVGPRsForWavesPerEU: 24
; Occupancy: 10
; WaveLimiterHint : 0
; COMPUTE_PGM_RSRC2:SCRATCH_EN: 0
; COMPUTE_PGM_RSRC2:USER_SGPR: 6
; COMPUTE_PGM_RSRC2:TRAP_HANDLER: 0
; COMPUTE_PGM_RSRC2:TGID_X_EN: 1
; COMPUTE_PGM_RSRC2:TGID_Y_EN: 0
; COMPUTE_PGM_RSRC2:TGID_Z_EN: 0
; COMPUTE_PGM_RSRC2:TIDIG_COMP_CNT: 0
	.section	.AMDGPU.gpr_maximums,"",@progbits
	.set amdgpu.max_num_vgpr, 0
	.set amdgpu.max_num_agpr, 0
	.set amdgpu.max_num_sgpr, 0
	.section	.AMDGPU.csdata,"",@progbits
	.type	__hip_cuid_79869e422c42e9f5,@object ; @__hip_cuid_79869e422c42e9f5
	.section	.bss,"aw",@nobits
	.globl	__hip_cuid_79869e422c42e9f5
__hip_cuid_79869e422c42e9f5:
	.byte	0                               ; 0x0
	.size	__hip_cuid_79869e422c42e9f5, 1

	.ident	"AMD clang version 22.0.0git (https://github.com/RadeonOpenCompute/llvm-project roc-7.2.4 26084 f58b06dce1f9c15707c5f808fd002e18c2accf7e)"
	.section	".note.GNU-stack","",@progbits
	.addrsig
	.addrsig_sym __hip_cuid_79869e422c42e9f5
	.amdgpu_metadata
---
amdhsa.kernels:
  - .args:
      - .offset:         0
        .size:           4
        .value_kind:     by_value
      - .offset:         4
        .size:           4
        .value_kind:     by_value
      - .actual_access:  read_only
        .address_space:  global
        .offset:         8
        .size:           8
        .value_kind:     global_buffer
      - .actual_access:  read_only
        .address_space:  global
        .offset:         16
        .size:           8
        .value_kind:     global_buffer
      - .actual_access:  write_only
        .address_space:  global
        .offset:         24
        .size:           8
        .value_kind:     global_buffer
      - .offset:         32
        .size:           4
        .value_kind:     by_value
    .group_segment_fixed_size: 0
    .kernarg_segment_align: 8
    .kernarg_segment_size: 36
    .language:       OpenCL C
    .language_version:
      - 2
      - 0
    .max_flat_workgroup_size: 1024
    .name:           _ZN9rocsparseL19nnz_compress_kernelILi1024ELi512ELi2EfEEvi21rocsparse_index_base_PKT2_PKiPiS2_
    .private_segment_fixed_size: 0
    .sgpr_count:     16
    .sgpr_spill_count: 0
    .symbol:         _ZN9rocsparseL19nnz_compress_kernelILi1024ELi512ELi2EfEEvi21rocsparse_index_base_PKT2_PKiPiS2_.kd
    .uniform_work_group_size: 1
    .uses_dynamic_stack: false
    .vgpr_count:     8
    .vgpr_spill_count: 0
    .wavefront_size: 64
  - .args:
      - .offset:         0
        .size:           4
        .value_kind:     by_value
      - .offset:         4
        .size:           4
        .value_kind:     by_value
      - .actual_access:  read_only
        .address_space:  global
        .offset:         8
        .size:           8
        .value_kind:     global_buffer
      - .actual_access:  read_only
        .address_space:  global
        .offset:         16
        .size:           8
        .value_kind:     global_buffer
      - .actual_access:  write_only
        .address_space:  global
        .offset:         24
        .size:           8
        .value_kind:     global_buffer
      - .offset:         32
        .size:           4
        .value_kind:     by_value
    .group_segment_fixed_size: 0
    .kernarg_segment_align: 8
    .kernarg_segment_size: 36
    .language:       OpenCL C
    .language_version:
      - 2
      - 0
    .max_flat_workgroup_size: 1024
    .name:           _ZN9rocsparseL19nnz_compress_kernelILi1024ELi256ELi4EfEEvi21rocsparse_index_base_PKT2_PKiPiS2_
    .private_segment_fixed_size: 0
    .sgpr_count:     16
    .sgpr_spill_count: 0
    .symbol:         _ZN9rocsparseL19nnz_compress_kernelILi1024ELi256ELi4EfEEvi21rocsparse_index_base_PKT2_PKiPiS2_.kd
    .uniform_work_group_size: 1
    .uses_dynamic_stack: false
    .vgpr_count:     8
    .vgpr_spill_count: 0
    .wavefront_size: 64
  - .args:
      - .offset:         0
        .size:           4
        .value_kind:     by_value
      - .offset:         4
        .size:           4
        .value_kind:     by_value
      - .actual_access:  read_only
        .address_space:  global
        .offset:         8
        .size:           8
        .value_kind:     global_buffer
      - .actual_access:  read_only
        .address_space:  global
        .offset:         16
        .size:           8
        .value_kind:     global_buffer
      - .actual_access:  write_only
        .address_space:  global
        .offset:         24
        .size:           8
        .value_kind:     global_buffer
      - .offset:         32
        .size:           4
        .value_kind:     by_value
    .group_segment_fixed_size: 0
    .kernarg_segment_align: 8
    .kernarg_segment_size: 36
    .language:       OpenCL C
    .language_version:
      - 2
      - 0
    .max_flat_workgroup_size: 1024
    .name:           _ZN9rocsparseL19nnz_compress_kernelILi1024ELi128ELi8EfEEvi21rocsparse_index_base_PKT2_PKiPiS2_
    .private_segment_fixed_size: 0
    .sgpr_count:     16
    .sgpr_spill_count: 0
    .symbol:         _ZN9rocsparseL19nnz_compress_kernelILi1024ELi128ELi8EfEEvi21rocsparse_index_base_PKT2_PKiPiS2_.kd
    .uniform_work_group_size: 1
    .uses_dynamic_stack: false
    .vgpr_count:     8
    .vgpr_spill_count: 0
    .wavefront_size: 64
  - .args:
      - .offset:         0
        .size:           4
        .value_kind:     by_value
      - .offset:         4
        .size:           4
        .value_kind:     by_value
      - .actual_access:  read_only
        .address_space:  global
        .offset:         8
        .size:           8
        .value_kind:     global_buffer
      - .actual_access:  read_only
        .address_space:  global
        .offset:         16
        .size:           8
        .value_kind:     global_buffer
      - .actual_access:  write_only
        .address_space:  global
        .offset:         24
        .size:           8
        .value_kind:     global_buffer
      - .offset:         32
        .size:           4
        .value_kind:     by_value
    .group_segment_fixed_size: 0
    .kernarg_segment_align: 8
    .kernarg_segment_size: 36
    .language:       OpenCL C
    .language_version:
      - 2
      - 0
    .max_flat_workgroup_size: 1024
    .name:           _ZN9rocsparseL19nnz_compress_kernelILi1024ELi64ELi16EfEEvi21rocsparse_index_base_PKT2_PKiPiS2_
    .private_segment_fixed_size: 0
    .sgpr_count:     16
    .sgpr_spill_count: 0
    .symbol:         _ZN9rocsparseL19nnz_compress_kernelILi1024ELi64ELi16EfEEvi21rocsparse_index_base_PKT2_PKiPiS2_.kd
    .uniform_work_group_size: 1
    .uses_dynamic_stack: false
    .vgpr_count:     8
    .vgpr_spill_count: 0
    .wavefront_size: 64
  - .args:
      - .offset:         0
        .size:           4
        .value_kind:     by_value
      - .offset:         4
        .size:           4
        .value_kind:     by_value
      - .actual_access:  read_only
        .address_space:  global
        .offset:         8
        .size:           8
        .value_kind:     global_buffer
      - .actual_access:  read_only
        .address_space:  global
        .offset:         16
        .size:           8
        .value_kind:     global_buffer
      - .actual_access:  write_only
        .address_space:  global
        .offset:         24
        .size:           8
        .value_kind:     global_buffer
      - .offset:         32
        .size:           4
        .value_kind:     by_value
    .group_segment_fixed_size: 0
    .kernarg_segment_align: 8
    .kernarg_segment_size: 36
    .language:       OpenCL C
    .language_version:
      - 2
      - 0
    .max_flat_workgroup_size: 1024
    .name:           _ZN9rocsparseL19nnz_compress_kernelILi1024ELi32ELi32EfEEvi21rocsparse_index_base_PKT2_PKiPiS2_
    .private_segment_fixed_size: 0
    .sgpr_count:     16
    .sgpr_spill_count: 0
    .symbol:         _ZN9rocsparseL19nnz_compress_kernelILi1024ELi32ELi32EfEEvi21rocsparse_index_base_PKT2_PKiPiS2_.kd
    .uniform_work_group_size: 1
    .uses_dynamic_stack: false
    .vgpr_count:     8
    .vgpr_spill_count: 0
    .wavefront_size: 64
  - .args:
      - .offset:         0
        .size:           4
        .value_kind:     by_value
      - .offset:         4
        .size:           4
        .value_kind:     by_value
      - .actual_access:  read_only
        .address_space:  global
        .offset:         8
        .size:           8
        .value_kind:     global_buffer
      - .actual_access:  read_only
        .address_space:  global
        .offset:         16
        .size:           8
        .value_kind:     global_buffer
      - .actual_access:  write_only
        .address_space:  global
        .offset:         24
        .size:           8
        .value_kind:     global_buffer
      - .offset:         32
        .size:           4
        .value_kind:     by_value
    .group_segment_fixed_size: 0
    .kernarg_segment_align: 8
    .kernarg_segment_size: 36
    .language:       OpenCL C
    .language_version:
      - 2
      - 0
    .max_flat_workgroup_size: 1024
    .name:           _ZN9rocsparseL19nnz_compress_kernelILi1024ELi16ELi64EfEEvi21rocsparse_index_base_PKT2_PKiPiS2_
    .private_segment_fixed_size: 0
    .sgpr_count:     16
    .sgpr_spill_count: 0
    .symbol:         _ZN9rocsparseL19nnz_compress_kernelILi1024ELi16ELi64EfEEvi21rocsparse_index_base_PKT2_PKiPiS2_.kd
    .uniform_work_group_size: 1
    .uses_dynamic_stack: false
    .vgpr_count:     8
    .vgpr_spill_count: 0
    .wavefront_size: 64
  - .args:
      - .offset:         0
        .size:           4
        .value_kind:     by_value
      - .offset:         4
        .size:           4
        .value_kind:     by_value
      - .actual_access:  read_only
        .address_space:  global
        .offset:         8
        .size:           8
        .value_kind:     global_buffer
      - .actual_access:  read_only
        .address_space:  global
        .offset:         16
        .size:           8
        .value_kind:     global_buffer
      - .actual_access:  write_only
        .address_space:  global
        .offset:         24
        .size:           8
        .value_kind:     global_buffer
      - .offset:         32
        .size:           8
        .value_kind:     by_value
    .group_segment_fixed_size: 0
    .kernarg_segment_align: 8
    .kernarg_segment_size: 40
    .language:       OpenCL C
    .language_version:
      - 2
      - 0
    .max_flat_workgroup_size: 1024
    .name:           _ZN9rocsparseL19nnz_compress_kernelILi1024ELi512ELi2EdEEvi21rocsparse_index_base_PKT2_PKiPiS2_
    .private_segment_fixed_size: 0
    .sgpr_count:     18
    .sgpr_spill_count: 0
    .symbol:         _ZN9rocsparseL19nnz_compress_kernelILi1024ELi512ELi2EdEEvi21rocsparse_index_base_PKT2_PKiPiS2_.kd
    .uniform_work_group_size: 1
    .uses_dynamic_stack: false
    .vgpr_count:     10
    .vgpr_spill_count: 0
    .wavefront_size: 64
  - .args:
      - .offset:         0
        .size:           4
        .value_kind:     by_value
      - .offset:         4
        .size:           4
        .value_kind:     by_value
      - .actual_access:  read_only
        .address_space:  global
        .offset:         8
        .size:           8
        .value_kind:     global_buffer
      - .actual_access:  read_only
        .address_space:  global
        .offset:         16
        .size:           8
        .value_kind:     global_buffer
      - .actual_access:  write_only
        .address_space:  global
        .offset:         24
        .size:           8
        .value_kind:     global_buffer
      - .offset:         32
        .size:           8
        .value_kind:     by_value
    .group_segment_fixed_size: 0
    .kernarg_segment_align: 8
    .kernarg_segment_size: 40
    .language:       OpenCL C
    .language_version:
      - 2
      - 0
    .max_flat_workgroup_size: 1024
    .name:           _ZN9rocsparseL19nnz_compress_kernelILi1024ELi256ELi4EdEEvi21rocsparse_index_base_PKT2_PKiPiS2_
    .private_segment_fixed_size: 0
    .sgpr_count:     18
    .sgpr_spill_count: 0
    .symbol:         _ZN9rocsparseL19nnz_compress_kernelILi1024ELi256ELi4EdEEvi21rocsparse_index_base_PKT2_PKiPiS2_.kd
    .uniform_work_group_size: 1
    .uses_dynamic_stack: false
    .vgpr_count:     10
    .vgpr_spill_count: 0
    .wavefront_size: 64
  - .args:
      - .offset:         0
        .size:           4
        .value_kind:     by_value
      - .offset:         4
        .size:           4
        .value_kind:     by_value
      - .actual_access:  read_only
        .address_space:  global
        .offset:         8
        .size:           8
        .value_kind:     global_buffer
      - .actual_access:  read_only
        .address_space:  global
        .offset:         16
        .size:           8
        .value_kind:     global_buffer
      - .actual_access:  write_only
        .address_space:  global
        .offset:         24
        .size:           8
        .value_kind:     global_buffer
      - .offset:         32
        .size:           8
        .value_kind:     by_value
    .group_segment_fixed_size: 0
    .kernarg_segment_align: 8
    .kernarg_segment_size: 40
    .language:       OpenCL C
    .language_version:
      - 2
      - 0
    .max_flat_workgroup_size: 1024
    .name:           _ZN9rocsparseL19nnz_compress_kernelILi1024ELi128ELi8EdEEvi21rocsparse_index_base_PKT2_PKiPiS2_
    .private_segment_fixed_size: 0
    .sgpr_count:     18
    .sgpr_spill_count: 0
    .symbol:         _ZN9rocsparseL19nnz_compress_kernelILi1024ELi128ELi8EdEEvi21rocsparse_index_base_PKT2_PKiPiS2_.kd
    .uniform_work_group_size: 1
    .uses_dynamic_stack: false
    .vgpr_count:     10
    .vgpr_spill_count: 0
    .wavefront_size: 64
  - .args:
      - .offset:         0
        .size:           4
        .value_kind:     by_value
      - .offset:         4
        .size:           4
        .value_kind:     by_value
      - .actual_access:  read_only
        .address_space:  global
        .offset:         8
        .size:           8
        .value_kind:     global_buffer
      - .actual_access:  read_only
        .address_space:  global
        .offset:         16
        .size:           8
        .value_kind:     global_buffer
      - .actual_access:  write_only
        .address_space:  global
        .offset:         24
        .size:           8
        .value_kind:     global_buffer
      - .offset:         32
        .size:           8
        .value_kind:     by_value
    .group_segment_fixed_size: 0
    .kernarg_segment_align: 8
    .kernarg_segment_size: 40
    .language:       OpenCL C
    .language_version:
      - 2
      - 0
    .max_flat_workgroup_size: 1024
    .name:           _ZN9rocsparseL19nnz_compress_kernelILi1024ELi64ELi16EdEEvi21rocsparse_index_base_PKT2_PKiPiS2_
    .private_segment_fixed_size: 0
    .sgpr_count:     18
    .sgpr_spill_count: 0
    .symbol:         _ZN9rocsparseL19nnz_compress_kernelILi1024ELi64ELi16EdEEvi21rocsparse_index_base_PKT2_PKiPiS2_.kd
    .uniform_work_group_size: 1
    .uses_dynamic_stack: false
    .vgpr_count:     10
    .vgpr_spill_count: 0
    .wavefront_size: 64
  - .args:
      - .offset:         0
        .size:           4
        .value_kind:     by_value
      - .offset:         4
        .size:           4
        .value_kind:     by_value
      - .actual_access:  read_only
        .address_space:  global
        .offset:         8
        .size:           8
        .value_kind:     global_buffer
      - .actual_access:  read_only
        .address_space:  global
        .offset:         16
        .size:           8
        .value_kind:     global_buffer
      - .actual_access:  write_only
        .address_space:  global
        .offset:         24
        .size:           8
        .value_kind:     global_buffer
      - .offset:         32
        .size:           8
        .value_kind:     by_value
    .group_segment_fixed_size: 0
    .kernarg_segment_align: 8
    .kernarg_segment_size: 40
    .language:       OpenCL C
    .language_version:
      - 2
      - 0
    .max_flat_workgroup_size: 1024
    .name:           _ZN9rocsparseL19nnz_compress_kernelILi1024ELi32ELi32EdEEvi21rocsparse_index_base_PKT2_PKiPiS2_
    .private_segment_fixed_size: 0
    .sgpr_count:     18
    .sgpr_spill_count: 0
    .symbol:         _ZN9rocsparseL19nnz_compress_kernelILi1024ELi32ELi32EdEEvi21rocsparse_index_base_PKT2_PKiPiS2_.kd
    .uniform_work_group_size: 1
    .uses_dynamic_stack: false
    .vgpr_count:     10
    .vgpr_spill_count: 0
    .wavefront_size: 64
  - .args:
      - .offset:         0
        .size:           4
        .value_kind:     by_value
      - .offset:         4
        .size:           4
        .value_kind:     by_value
      - .actual_access:  read_only
        .address_space:  global
        .offset:         8
        .size:           8
        .value_kind:     global_buffer
      - .actual_access:  read_only
        .address_space:  global
        .offset:         16
        .size:           8
        .value_kind:     global_buffer
      - .actual_access:  write_only
        .address_space:  global
        .offset:         24
        .size:           8
        .value_kind:     global_buffer
      - .offset:         32
        .size:           8
        .value_kind:     by_value
    .group_segment_fixed_size: 0
    .kernarg_segment_align: 8
    .kernarg_segment_size: 40
    .language:       OpenCL C
    .language_version:
      - 2
      - 0
    .max_flat_workgroup_size: 1024
    .name:           _ZN9rocsparseL19nnz_compress_kernelILi1024ELi16ELi64EdEEvi21rocsparse_index_base_PKT2_PKiPiS2_
    .private_segment_fixed_size: 0
    .sgpr_count:     18
    .sgpr_spill_count: 0
    .symbol:         _ZN9rocsparseL19nnz_compress_kernelILi1024ELi16ELi64EdEEvi21rocsparse_index_base_PKT2_PKiPiS2_.kd
    .uniform_work_group_size: 1
    .uses_dynamic_stack: false
    .vgpr_count:     10
    .vgpr_spill_count: 0
    .wavefront_size: 64
  - .args:
      - .offset:         0
        .size:           4
        .value_kind:     by_value
      - .offset:         4
        .size:           4
        .value_kind:     by_value
      - .actual_access:  read_only
        .address_space:  global
        .offset:         8
        .size:           8
        .value_kind:     global_buffer
      - .actual_access:  read_only
        .address_space:  global
        .offset:         16
        .size:           8
        .value_kind:     global_buffer
      - .actual_access:  write_only
        .address_space:  global
        .offset:         24
        .size:           8
        .value_kind:     global_buffer
      - .offset:         32
        .size:           8
        .value_kind:     by_value
    .group_segment_fixed_size: 0
    .kernarg_segment_align: 8
    .kernarg_segment_size: 40
    .language:       OpenCL C
    .language_version:
      - 2
      - 0
    .max_flat_workgroup_size: 1024
    .name:           _ZN9rocsparseL19nnz_compress_kernelILi1024ELi512ELi2E21rocsparse_complex_numIfEEEvi21rocsparse_index_base_PKT2_PKiPiS4_
    .private_segment_fixed_size: 0
    .sgpr_count:     21
    .sgpr_spill_count: 0
    .symbol:         _ZN9rocsparseL19nnz_compress_kernelILi1024ELi512ELi2E21rocsparse_complex_numIfEEEvi21rocsparse_index_base_PKT2_PKiPiS4_.kd
    .uniform_work_group_size: 1
    .uses_dynamic_stack: false
    .vgpr_count:     17
    .vgpr_spill_count: 0
    .wavefront_size: 64
  - .args:
      - .offset:         0
        .size:           4
        .value_kind:     by_value
      - .offset:         4
        .size:           4
        .value_kind:     by_value
      - .actual_access:  read_only
        .address_space:  global
        .offset:         8
        .size:           8
        .value_kind:     global_buffer
      - .actual_access:  read_only
        .address_space:  global
        .offset:         16
        .size:           8
        .value_kind:     global_buffer
      - .actual_access:  write_only
        .address_space:  global
        .offset:         24
        .size:           8
        .value_kind:     global_buffer
      - .offset:         32
        .size:           8
        .value_kind:     by_value
    .group_segment_fixed_size: 0
    .kernarg_segment_align: 8
    .kernarg_segment_size: 40
    .language:       OpenCL C
    .language_version:
      - 2
      - 0
    .max_flat_workgroup_size: 1024
    .name:           _ZN9rocsparseL19nnz_compress_kernelILi1024ELi256ELi4E21rocsparse_complex_numIfEEEvi21rocsparse_index_base_PKT2_PKiPiS4_
    .private_segment_fixed_size: 0
    .sgpr_count:     21
    .sgpr_spill_count: 0
    .symbol:         _ZN9rocsparseL19nnz_compress_kernelILi1024ELi256ELi4E21rocsparse_complex_numIfEEEvi21rocsparse_index_base_PKT2_PKiPiS4_.kd
    .uniform_work_group_size: 1
    .uses_dynamic_stack: false
    .vgpr_count:     17
    .vgpr_spill_count: 0
    .wavefront_size: 64
  - .args:
      - .offset:         0
        .size:           4
        .value_kind:     by_value
      - .offset:         4
        .size:           4
        .value_kind:     by_value
      - .actual_access:  read_only
        .address_space:  global
        .offset:         8
        .size:           8
        .value_kind:     global_buffer
      - .actual_access:  read_only
        .address_space:  global
        .offset:         16
        .size:           8
        .value_kind:     global_buffer
      - .actual_access:  write_only
        .address_space:  global
        .offset:         24
        .size:           8
        .value_kind:     global_buffer
      - .offset:         32
        .size:           8
        .value_kind:     by_value
    .group_segment_fixed_size: 0
    .kernarg_segment_align: 8
    .kernarg_segment_size: 40
    .language:       OpenCL C
    .language_version:
      - 2
      - 0
    .max_flat_workgroup_size: 1024
    .name:           _ZN9rocsparseL19nnz_compress_kernelILi1024ELi128ELi8E21rocsparse_complex_numIfEEEvi21rocsparse_index_base_PKT2_PKiPiS4_
    .private_segment_fixed_size: 0
    .sgpr_count:     21
    .sgpr_spill_count: 0
    .symbol:         _ZN9rocsparseL19nnz_compress_kernelILi1024ELi128ELi8E21rocsparse_complex_numIfEEEvi21rocsparse_index_base_PKT2_PKiPiS4_.kd
    .uniform_work_group_size: 1
    .uses_dynamic_stack: false
    .vgpr_count:     17
    .vgpr_spill_count: 0
    .wavefront_size: 64
  - .args:
      - .offset:         0
        .size:           4
        .value_kind:     by_value
      - .offset:         4
        .size:           4
        .value_kind:     by_value
      - .actual_access:  read_only
        .address_space:  global
        .offset:         8
        .size:           8
        .value_kind:     global_buffer
      - .actual_access:  read_only
        .address_space:  global
        .offset:         16
        .size:           8
        .value_kind:     global_buffer
      - .actual_access:  write_only
        .address_space:  global
        .offset:         24
        .size:           8
        .value_kind:     global_buffer
      - .offset:         32
        .size:           8
        .value_kind:     by_value
    .group_segment_fixed_size: 0
    .kernarg_segment_align: 8
    .kernarg_segment_size: 40
    .language:       OpenCL C
    .language_version:
      - 2
      - 0
    .max_flat_workgroup_size: 1024
    .name:           _ZN9rocsparseL19nnz_compress_kernelILi1024ELi64ELi16E21rocsparse_complex_numIfEEEvi21rocsparse_index_base_PKT2_PKiPiS4_
    .private_segment_fixed_size: 0
    .sgpr_count:     21
    .sgpr_spill_count: 0
    .symbol:         _ZN9rocsparseL19nnz_compress_kernelILi1024ELi64ELi16E21rocsparse_complex_numIfEEEvi21rocsparse_index_base_PKT2_PKiPiS4_.kd
    .uniform_work_group_size: 1
    .uses_dynamic_stack: false
    .vgpr_count:     17
    .vgpr_spill_count: 0
    .wavefront_size: 64
  - .args:
      - .offset:         0
        .size:           4
        .value_kind:     by_value
      - .offset:         4
        .size:           4
        .value_kind:     by_value
      - .actual_access:  read_only
        .address_space:  global
        .offset:         8
        .size:           8
        .value_kind:     global_buffer
      - .actual_access:  read_only
        .address_space:  global
        .offset:         16
        .size:           8
        .value_kind:     global_buffer
      - .actual_access:  write_only
        .address_space:  global
        .offset:         24
        .size:           8
        .value_kind:     global_buffer
      - .offset:         32
        .size:           8
        .value_kind:     by_value
    .group_segment_fixed_size: 0
    .kernarg_segment_align: 8
    .kernarg_segment_size: 40
    .language:       OpenCL C
    .language_version:
      - 2
      - 0
    .max_flat_workgroup_size: 1024
    .name:           _ZN9rocsparseL19nnz_compress_kernelILi1024ELi32ELi32E21rocsparse_complex_numIfEEEvi21rocsparse_index_base_PKT2_PKiPiS4_
    .private_segment_fixed_size: 0
    .sgpr_count:     21
    .sgpr_spill_count: 0
    .symbol:         _ZN9rocsparseL19nnz_compress_kernelILi1024ELi32ELi32E21rocsparse_complex_numIfEEEvi21rocsparse_index_base_PKT2_PKiPiS4_.kd
    .uniform_work_group_size: 1
    .uses_dynamic_stack: false
    .vgpr_count:     17
    .vgpr_spill_count: 0
    .wavefront_size: 64
  - .args:
      - .offset:         0
        .size:           4
        .value_kind:     by_value
      - .offset:         4
        .size:           4
        .value_kind:     by_value
      - .actual_access:  read_only
        .address_space:  global
        .offset:         8
        .size:           8
        .value_kind:     global_buffer
      - .actual_access:  read_only
        .address_space:  global
        .offset:         16
        .size:           8
        .value_kind:     global_buffer
      - .actual_access:  write_only
        .address_space:  global
        .offset:         24
        .size:           8
        .value_kind:     global_buffer
      - .offset:         32
        .size:           8
        .value_kind:     by_value
    .group_segment_fixed_size: 0
    .kernarg_segment_align: 8
    .kernarg_segment_size: 40
    .language:       OpenCL C
    .language_version:
      - 2
      - 0
    .max_flat_workgroup_size: 1024
    .name:           _ZN9rocsparseL19nnz_compress_kernelILi1024ELi16ELi64E21rocsparse_complex_numIfEEEvi21rocsparse_index_base_PKT2_PKiPiS4_
    .private_segment_fixed_size: 0
    .sgpr_count:     21
    .sgpr_spill_count: 0
    .symbol:         _ZN9rocsparseL19nnz_compress_kernelILi1024ELi16ELi64E21rocsparse_complex_numIfEEEvi21rocsparse_index_base_PKT2_PKiPiS4_.kd
    .uniform_work_group_size: 1
    .uses_dynamic_stack: false
    .vgpr_count:     17
    .vgpr_spill_count: 0
    .wavefront_size: 64
  - .args:
      - .offset:         0
        .size:           4
        .value_kind:     by_value
      - .offset:         4
        .size:           4
        .value_kind:     by_value
      - .actual_access:  read_only
        .address_space:  global
        .offset:         8
        .size:           8
        .value_kind:     global_buffer
      - .actual_access:  read_only
        .address_space:  global
        .offset:         16
        .size:           8
        .value_kind:     global_buffer
      - .actual_access:  write_only
        .address_space:  global
        .offset:         24
        .size:           8
        .value_kind:     global_buffer
      - .offset:         32
        .size:           16
        .value_kind:     by_value
    .group_segment_fixed_size: 0
    .kernarg_segment_align: 8
    .kernarg_segment_size: 48
    .language:       OpenCL C
    .language_version:
      - 2
      - 0
    .max_flat_workgroup_size: 1024
    .name:           _ZN9rocsparseL19nnz_compress_kernelILi1024ELi512ELi2E21rocsparse_complex_numIdEEEvi21rocsparse_index_base_PKT2_PKiPiS4_
    .private_segment_fixed_size: 0
    .sgpr_count:     24
    .sgpr_spill_count: 0
    .symbol:         _ZN9rocsparseL19nnz_compress_kernelILi1024ELi512ELi2E21rocsparse_complex_numIdEEEvi21rocsparse_index_base_PKT2_PKiPiS4_.kd
    .uniform_work_group_size: 1
    .uses_dynamic_stack: false
    .vgpr_count:     24
    .vgpr_spill_count: 0
    .wavefront_size: 64
  - .args:
      - .offset:         0
        .size:           4
        .value_kind:     by_value
      - .offset:         4
        .size:           4
        .value_kind:     by_value
      - .actual_access:  read_only
        .address_space:  global
        .offset:         8
        .size:           8
        .value_kind:     global_buffer
      - .actual_access:  read_only
        .address_space:  global
        .offset:         16
        .size:           8
        .value_kind:     global_buffer
      - .actual_access:  write_only
        .address_space:  global
        .offset:         24
        .size:           8
        .value_kind:     global_buffer
      - .offset:         32
        .size:           16
        .value_kind:     by_value
    .group_segment_fixed_size: 0
    .kernarg_segment_align: 8
    .kernarg_segment_size: 48
    .language:       OpenCL C
    .language_version:
      - 2
      - 0
    .max_flat_workgroup_size: 1024
    .name:           _ZN9rocsparseL19nnz_compress_kernelILi1024ELi256ELi4E21rocsparse_complex_numIdEEEvi21rocsparse_index_base_PKT2_PKiPiS4_
    .private_segment_fixed_size: 0
    .sgpr_count:     24
    .sgpr_spill_count: 0
    .symbol:         _ZN9rocsparseL19nnz_compress_kernelILi1024ELi256ELi4E21rocsparse_complex_numIdEEEvi21rocsparse_index_base_PKT2_PKiPiS4_.kd
    .uniform_work_group_size: 1
    .uses_dynamic_stack: false
    .vgpr_count:     24
    .vgpr_spill_count: 0
    .wavefront_size: 64
  - .args:
      - .offset:         0
        .size:           4
        .value_kind:     by_value
      - .offset:         4
        .size:           4
        .value_kind:     by_value
      - .actual_access:  read_only
        .address_space:  global
        .offset:         8
        .size:           8
        .value_kind:     global_buffer
      - .actual_access:  read_only
        .address_space:  global
        .offset:         16
        .size:           8
        .value_kind:     global_buffer
      - .actual_access:  write_only
        .address_space:  global
        .offset:         24
        .size:           8
        .value_kind:     global_buffer
      - .offset:         32
        .size:           16
        .value_kind:     by_value
    .group_segment_fixed_size: 0
    .kernarg_segment_align: 8
    .kernarg_segment_size: 48
    .language:       OpenCL C
    .language_version:
      - 2
      - 0
    .max_flat_workgroup_size: 1024
    .name:           _ZN9rocsparseL19nnz_compress_kernelILi1024ELi128ELi8E21rocsparse_complex_numIdEEEvi21rocsparse_index_base_PKT2_PKiPiS4_
    .private_segment_fixed_size: 0
    .sgpr_count:     24
    .sgpr_spill_count: 0
    .symbol:         _ZN9rocsparseL19nnz_compress_kernelILi1024ELi128ELi8E21rocsparse_complex_numIdEEEvi21rocsparse_index_base_PKT2_PKiPiS4_.kd
    .uniform_work_group_size: 1
    .uses_dynamic_stack: false
    .vgpr_count:     24
    .vgpr_spill_count: 0
    .wavefront_size: 64
  - .args:
      - .offset:         0
        .size:           4
        .value_kind:     by_value
      - .offset:         4
        .size:           4
        .value_kind:     by_value
      - .actual_access:  read_only
        .address_space:  global
        .offset:         8
        .size:           8
        .value_kind:     global_buffer
      - .actual_access:  read_only
        .address_space:  global
        .offset:         16
        .size:           8
        .value_kind:     global_buffer
      - .actual_access:  write_only
        .address_space:  global
        .offset:         24
        .size:           8
        .value_kind:     global_buffer
      - .offset:         32
        .size:           16
        .value_kind:     by_value
    .group_segment_fixed_size: 0
    .kernarg_segment_align: 8
    .kernarg_segment_size: 48
    .language:       OpenCL C
    .language_version:
      - 2
      - 0
    .max_flat_workgroup_size: 1024
    .name:           _ZN9rocsparseL19nnz_compress_kernelILi1024ELi64ELi16E21rocsparse_complex_numIdEEEvi21rocsparse_index_base_PKT2_PKiPiS4_
    .private_segment_fixed_size: 0
    .sgpr_count:     24
    .sgpr_spill_count: 0
    .symbol:         _ZN9rocsparseL19nnz_compress_kernelILi1024ELi64ELi16E21rocsparse_complex_numIdEEEvi21rocsparse_index_base_PKT2_PKiPiS4_.kd
    .uniform_work_group_size: 1
    .uses_dynamic_stack: false
    .vgpr_count:     24
    .vgpr_spill_count: 0
    .wavefront_size: 64
  - .args:
      - .offset:         0
        .size:           4
        .value_kind:     by_value
      - .offset:         4
        .size:           4
        .value_kind:     by_value
      - .actual_access:  read_only
        .address_space:  global
        .offset:         8
        .size:           8
        .value_kind:     global_buffer
      - .actual_access:  read_only
        .address_space:  global
        .offset:         16
        .size:           8
        .value_kind:     global_buffer
      - .actual_access:  write_only
        .address_space:  global
        .offset:         24
        .size:           8
        .value_kind:     global_buffer
      - .offset:         32
        .size:           16
        .value_kind:     by_value
    .group_segment_fixed_size: 0
    .kernarg_segment_align: 8
    .kernarg_segment_size: 48
    .language:       OpenCL C
    .language_version:
      - 2
      - 0
    .max_flat_workgroup_size: 1024
    .name:           _ZN9rocsparseL19nnz_compress_kernelILi1024ELi32ELi32E21rocsparse_complex_numIdEEEvi21rocsparse_index_base_PKT2_PKiPiS4_
    .private_segment_fixed_size: 0
    .sgpr_count:     24
    .sgpr_spill_count: 0
    .symbol:         _ZN9rocsparseL19nnz_compress_kernelILi1024ELi32ELi32E21rocsparse_complex_numIdEEEvi21rocsparse_index_base_PKT2_PKiPiS4_.kd
    .uniform_work_group_size: 1
    .uses_dynamic_stack: false
    .vgpr_count:     24
    .vgpr_spill_count: 0
    .wavefront_size: 64
  - .args:
      - .offset:         0
        .size:           4
        .value_kind:     by_value
      - .offset:         4
        .size:           4
        .value_kind:     by_value
      - .actual_access:  read_only
        .address_space:  global
        .offset:         8
        .size:           8
        .value_kind:     global_buffer
      - .actual_access:  read_only
        .address_space:  global
        .offset:         16
        .size:           8
        .value_kind:     global_buffer
      - .actual_access:  write_only
        .address_space:  global
        .offset:         24
        .size:           8
        .value_kind:     global_buffer
      - .offset:         32
        .size:           16
        .value_kind:     by_value
    .group_segment_fixed_size: 0
    .kernarg_segment_align: 8
    .kernarg_segment_size: 48
    .language:       OpenCL C
    .language_version:
      - 2
      - 0
    .max_flat_workgroup_size: 1024
    .name:           _ZN9rocsparseL19nnz_compress_kernelILi1024ELi16ELi64E21rocsparse_complex_numIdEEEvi21rocsparse_index_base_PKT2_PKiPiS4_
    .private_segment_fixed_size: 0
    .sgpr_count:     24
    .sgpr_spill_count: 0
    .symbol:         _ZN9rocsparseL19nnz_compress_kernelILi1024ELi16ELi64E21rocsparse_complex_numIdEEEvi21rocsparse_index_base_PKT2_PKiPiS4_.kd
    .uniform_work_group_size: 1
    .uses_dynamic_stack: false
    .vgpr_count:     24
    .vgpr_spill_count: 0
    .wavefront_size: 64
amdhsa.target:   amdgcn-amd-amdhsa--gfx906
amdhsa.version:
  - 1
  - 2
...

	.end_amdgpu_metadata
